;; amdgpu-corpus repo=ROCm/rocFFT kind=compiled arch=gfx950 opt=O3
	.text
	.amdgcn_target "amdgcn-amd-amdhsa--gfx950"
	.amdhsa_code_object_version 6
	.protected	bluestein_single_back_len1400_dim1_sp_op_CI_CI ; -- Begin function bluestein_single_back_len1400_dim1_sp_op_CI_CI
	.globl	bluestein_single_back_len1400_dim1_sp_op_CI_CI
	.p2align	8
	.type	bluestein_single_back_len1400_dim1_sp_op_CI_CI,@function
bluestein_single_back_len1400_dim1_sp_op_CI_CI: ; @bluestein_single_back_len1400_dim1_sp_op_CI_CI
; %bb.0:
	s_load_dwordx4 s[4:7], s[0:1], 0x28
	v_mul_u32_u24_e32 v1, 0x493, v0
	v_mov_b32_e32 v171, 0
	v_add_u32_sdwa v178, s2, v1 dst_sel:DWORD dst_unused:UNUSED_PAD src0_sel:DWORD src1_sel:WORD_1
	v_mov_b32_e32 v179, v171
	s_waitcnt lgkmcnt(0)
	v_cmp_gt_u64_e32 vcc, s[4:5], v[178:179]
	s_and_saveexec_b64 s[2:3], vcc
	s_cbranch_execz .LBB0_41
; %bb.1:
	s_load_dwordx4 s[12:15], s[0:1], 0x18
	s_load_dwordx2 s[16:17], s[0:1], 0x0
	v_mov_b32_e32 v2, s6
	v_mov_b32_e32 v3, s7
	;; [unrolled: 1-line block ×3, first 2 shown]
	s_waitcnt lgkmcnt(0)
	s_load_dwordx4 s[4:7], s[12:13], 0x0
	v_mul_lo_u16_sdwa v1, v1, v4 dst_sel:DWORD dst_unused:UNUSED_PAD src0_sel:WORD_1 src1_sel:DWORD
	v_sub_u16_e32 v170, v0, v1
	v_lshlrev_b32_e32 v152, 3, v170
	v_mov_b32_e32 v153, v171
	s_waitcnt lgkmcnt(0)
	v_mad_u64_u32 v[0:1], s[2:3], s6, v178, 0
	v_mov_b32_e32 v4, v1
	v_mad_u64_u32 v[4:5], s[2:3], s7, v178, v[4:5]
	v_mov_b32_e32 v1, v4
	v_mad_u64_u32 v[4:5], s[2:3], s4, v170, 0
	v_mov_b32_e32 v6, v5
	v_mad_u64_u32 v[6:7], s[2:3], s5, v170, v[6:7]
	v_lshl_add_u64 v[32:33], s[16:17], 0, v[152:153]
	s_mul_i32 s2, s5, 0x2bc
	s_mul_hi_u32 s3, s4, 0x2bc
	s_movk_i32 s8, 0x1000
	s_mul_hi_u32 s9, s4, 0xfffffd7c
	v_mov_b32_e32 v5, v6
	v_lshl_add_u64 v[0:1], v[0:1], 3, v[2:3]
	s_add_i32 s3, s3, s2
	s_mul_i32 s2, s4, 0x2bc
	v_add_co_u32_e32 v12, vcc, s8, v32
	s_mul_i32 s8, s5, 0xfffffd7c
	s_sub_i32 s9, s9, s4
	v_lshl_add_u64 v[6:7], v[4:5], 3, v[0:1]
	s_lshl_b64 s[6:7], s[2:3], 3
	v_addc_co_u32_e32 v13, vcc, 0, v33, vcc
	s_add_i32 s19, s9, s8
	s_mul_i32 s18, s4, 0xfffffd7c
	v_lshl_add_u64 v[8:9], v[6:7], 0, s[6:7]
	global_load_dwordx2 v[4:5], v[6:7], off
	global_load_dwordx2 v[2:3], v[8:9], off
	global_load_dwordx2 v[40:41], v[12:13], off offset:1504
	global_load_dwordx2 v[52:53], v152, s[16:17]
	s_lshl_b64 s[20:21], s[18:19], 3
	v_lshl_add_u64 v[6:7], v[8:9], 0, s[20:21]
	global_load_dwordx2 v[10:11], v[6:7], off
	global_load_dwordx2 v[36:37], v152, s[16:17] offset:448
	v_lshl_add_u64 v[6:7], v[6:7], 0, s[6:7]
	global_load_dwordx2 v[34:35], v[12:13], off offset:1952
	global_load_dwordx2 v[14:15], v[6:7], off
	v_lshl_add_u64 v[8:9], v[6:7], 0, s[20:21]
	global_load_dwordx2 v[6:7], v[8:9], off
	global_load_dwordx2 v[38:39], v152, s[16:17] offset:896
	s_load_dwordx2 s[12:13], s[0:1], 0x38
	s_load_dwordx4 s[8:11], s[14:15], 0x0
	global_load_dwordx2 v[42:43], v[12:13], off offset:2400
	v_lshl_add_u64 v[16:17], v[8:9], 0, s[6:7]
	global_load_dwordx2 v[8:9], v[16:17], off
	global_load_dwordx2 v[58:59], v152, s[16:17] offset:1344
	global_load_dwordx2 v[54:55], v152, s[16:17] offset:1792
	;; [unrolled: 1-line block ×3, first 2 shown]
	global_load_dwordx2 v[64:65], v[12:13], off offset:2848
	global_load_dwordx2 v[56:57], v[12:13], off offset:3296
	;; [unrolled: 1-line block ×5, first 2 shown]
	v_lshl_add_u64 v[12:13], v[16:17], 0, s[20:21]
	global_load_dwordx2 v[16:17], v[12:13], off
	v_lshl_add_u64 v[12:13], v[12:13], 0, s[6:7]
	global_load_dwordx2 v[18:19], v[12:13], off
	;; [unrolled: 2-line block ×5, first 2 shown]
	v_lshl_add_u64 v[12:13], v[12:13], 0, s[6:7]
	s_movk_i32 s14, 0x2000
	global_load_dwordx2 v[26:27], v[12:13], off
	v_lshl_add_u64 v[12:13], v[12:13], 0, s[20:21]
	v_accvgpr_write_b32 a0, v32
	v_or_b32_e32 v169, 0x1c0, v170
	global_load_dwordx2 v[28:29], v[12:13], off
	v_lshl_add_u64 v[12:13], v[12:13], 0, s[6:7]
	v_accvgpr_write_b32 a1, v33
	global_load_dwordx2 v[206:207], v152, s[16:17] offset:2688
	s_waitcnt vmcnt(25)
	v_accvgpr_write_b32 a34, v40
	s_waitcnt vmcnt(24)
	v_mul_f32_e32 v30, v5, v53
	v_mul_f32_e32 v31, v4, v53
	v_fmac_f32_e32 v30, v4, v52
	v_fma_f32 v31, v5, v52, -v31
	v_mul_f32_e32 v4, v3, v41
	v_mul_f32_e32 v5, v2, v41
	v_fmac_f32_e32 v4, v2, v40
	v_fma_f32 v5, v3, v40, -v5
	s_waitcnt vmcnt(22)
	v_mul_f32_e32 v2, v11, v37
	v_mul_f32_e32 v3, v10, v37
	v_fmac_f32_e32 v2, v10, v36
	v_fma_f32 v3, v11, v36, -v3
	ds_write_b64 v152, v[4:5] offset:5600
	ds_write2_b64 v152, v[30:31], v[2:3] offset1:56
	v_add_co_u32_e32 v2, vcc, s14, v32
	s_waitcnt vmcnt(20)
	v_mul_f32_e32 v4, v15, v35
	v_mul_f32_e32 v5, v14, v35
	v_accvgpr_write_b32 a26, v34
	v_addc_co_u32_e32 v3, vcc, 0, v33, vcc
	v_mad_u64_u32 v[32:33], s[14:15], s4, v169, 0
	v_fmac_f32_e32 v4, v14, v34
	v_accvgpr_write_b32 a27, v35
	v_fma_f32 v5, v15, v34, -v5
	global_load_dwordx2 v[10:11], v[12:13], off
	v_lshl_add_u64 v[12:13], v[12:13], 0, s[20:21]
	v_mov_b32_e32 v34, v33
	global_load_dwordx2 v[14:15], v[12:13], off
	global_load_dwordx2 v[202:203], v152, s[16:17] offset:3136
	global_load_dwordx2 v[204:205], v[2:3], off offset:96
	v_mad_u64_u32 v[34:35], s[14:15], s5, v169, v[34:35]
	v_mov_b32_e32 v33, v34
	v_lshl_add_u64 v[12:13], v[12:13], 0, s[6:7]
	v_lshl_add_u64 v[0:1], v[32:33], 3, v[0:1]
	global_load_dwordx2 v[30:31], v[12:13], off
	global_load_dwordx2 v[32:33], v[0:1], off
	global_load_dwordx2 v[70:71], v[2:3], off offset:544
	global_load_dwordx2 v[68:69], v152, s[16:17] offset:3584
	v_mov_b32_e32 v0, 0x1c0
	v_mad_u64_u32 v[0:1], s[14:15], s4, v0, v[12:13]
	s_mul_i32 s4, s5, 0x1c0
	v_add_u32_e32 v1, s4, v1
	v_accvgpr_write_b32 a32, v36
	global_load_dwordx2 v[12:13], v[0:1], off
	global_load_dwordx2 v[66:67], v[2:3], off offset:992
	s_waitcnt vmcnt(28)
	v_mul_f32_e32 v34, v7, v39
	v_lshl_add_u64 v[0:1], v[0:1], 0, s[20:21]
	v_accvgpr_write_b32 a33, v37
	v_fmac_f32_e32 v34, v6, v38
	v_mul_f32_e32 v6, v6, v39
	global_load_dwordx2 v[36:37], v[0:1], off
	global_load_dwordx2 v[62:63], v152, s[16:17] offset:4032
	v_accvgpr_write_b32 a22, v38
	v_lshl_add_u64 v[0:1], v[0:1], 0, s[6:7]
	v_accvgpr_write_b32 a23, v39
	v_fma_f32 v35, v7, v38, -v6
	global_load_dwordx2 v[38:39], v[0:1], off
	global_load_dwordx2 v[60:61], v[2:3], off offset:1440
	v_lshl_add_u64 v[0:1], v[0:1], 0, s[20:21]
	v_accvgpr_write_b32 a40, v52
	v_accvgpr_write_b32 a35, v41
	s_waitcnt vmcnt(30)
	v_mul_f32_e32 v6, v9, v43
	v_mul_f32_e32 v7, v8, v43
	global_load_dwordx2 v[40:41], v[0:1], off
	v_lshl_add_u64 v[0:1], v[0:1], 0, s[6:7]
	v_accvgpr_write_b32 a41, v53
	v_fmac_f32_e32 v6, v8, v42
	v_accvgpr_write_b32 a20, v42
	v_fma_f32 v7, v9, v42, -v7
	global_load_dwordx2 v[8:9], v[0:1], off
	global_load_dwordx2 v[52:53], v[2:3], off offset:1888
	v_accvgpr_write_b32 a21, v43
	v_add_u32_e32 v42, 0x1400, v152
	v_lshl_add_u64 v[0:1], v[0:1], 0, s[20:21]
	ds_write2_b64 v42, v[4:5], v[6:7] offset0:116 offset1:172
	global_load_dwordx2 v[6:7], v[0:1], off
	s_waitcnt vmcnt(25)
	v_mul_f32_e32 v4, v17, v59
	v_mul_f32_e32 v5, v16, v59
	v_lshl_add_u64 v[0:1], v[0:1], 0, s[6:7]
	v_fmac_f32_e32 v4, v16, v58
	v_fma_f32 v5, v17, v58, -v5
	global_load_dwordx2 v[16:17], v[0:1], off
	global_load_dwordx2 v[42:43], v[2:3], off offset:2336
	ds_write2_b64 v152, v[34:35], v[4:5] offset0:112 offset1:168
	s_waitcnt vmcnt(26)
	v_mul_f32_e32 v4, v19, v65
	v_mul_f32_e32 v2, v18, v65
	v_fmac_f32_e32 v4, v18, v64
	v_fma_f32 v5, v19, v64, -v2
	s_waitcnt vmcnt(25)
	v_mul_f32_e32 v18, v21, v55
	v_mul_f32_e32 v2, v20, v55
	v_fmac_f32_e32 v18, v20, v54
	v_fma_f32 v19, v21, v54, -v2
	;; [unrolled: 5-line block ×3, first 2 shown]
	v_add_u32_e32 v2, 0x1800, v152
	ds_write2_b64 v2, v[4:5], v[20:21] offset0:100 offset1:156
	s_waitcnt vmcnt(23)
	v_mul_f32_e32 v4, v25, v51
	v_mul_f32_e32 v3, v24, v51
	v_fmac_f32_e32 v4, v24, v50
	v_fma_f32 v5, v25, v50, -v3
	v_add_u32_e32 v3, 0x400, v152
	ds_write2_b64 v3, v[18:19], v[4:5] offset0:96 offset1:152
	s_waitcnt vmcnt(22)
	v_mul_f32_e32 v4, v27, v49
	v_mul_f32_e32 v5, v26, v49
	v_fmac_f32_e32 v4, v26, v48
	v_fma_f32 v5, v27, v48, -v5
	s_waitcnt vmcnt(20)
	v_mul_f32_e32 v18, v29, v207
	v_mul_f32_e32 v19, v28, v207
	v_fmac_f32_e32 v18, v28, v206
	v_fma_f32 v19, v29, v206, -v19
	v_accvgpr_write_b32 a18, v58
	v_accvgpr_write_b32 a30, v64
	s_waitcnt vmcnt(16)
	v_mul_f32_e32 v20, v11, v205
	v_fmac_f32_e32 v20, v10, v204
	v_mul_f32_e32 v10, v10, v205
	v_fma_f32 v21, v11, v204, -v10
	v_add_u32_e32 v10, 0x1c00, v152
	ds_write2_b64 v10, v[4:5], v[20:21] offset0:84 offset1:140
	v_mul_f32_e32 v10, v15, v203
	v_mul_f32_e32 v4, v14, v203
	v_fmac_f32_e32 v10, v14, v202
	v_fma_f32 v11, v15, v202, -v4
	v_add_u32_e32 v4, 0x800, v152
	s_waitcnt vmcnt(13)
	v_mul_f32_e32 v5, v30, v71
	ds_write2_b64 v4, v[18:19], v[10:11] offset0:80 offset1:136
	v_fma_f32 v11, v31, v70, -v5
	s_waitcnt vmcnt(12)
	v_mul_f32_e32 v5, v32, v69
	v_mul_f32_e32 v10, v31, v71
	v_fma_f32 v15, v33, v68, -v5
	s_waitcnt vmcnt(10)
	v_mul_f32_e32 v18, v13, v67
	v_mul_f32_e32 v5, v12, v67
	v_fmac_f32_e32 v10, v30, v70
	v_fmac_f32_e32 v18, v12, v66
	v_fma_f32 v19, v13, v66, -v5
	v_add_u32_e32 v5, 0x2000, v152
	v_mul_f32_e32 v14, v33, v69
	ds_write2_b64 v5, v[10:11], v[18:19] offset0:68 offset1:124
	s_waitcnt vmcnt(8)
	v_mul_f32_e32 v10, v37, v63
	v_mul_f32_e32 v11, v36, v63
	v_fmac_f32_e32 v14, v32, v68
	v_fmac_f32_e32 v10, v36, v62
	v_fma_f32 v11, v37, v62, -v11
	ds_write2_b64 v4, v[14:15], v[10:11] offset0:192 offset1:248
	s_waitcnt vmcnt(5)
	v_mul_f32_e32 v12, v41, v47
	v_mul_f32_e32 v13, v40, v47
	v_fmac_f32_e32 v12, v40, v46
	v_fma_f32 v13, v41, v46, -v13
	v_accvgpr_write_b32 a14, v54
	v_accvgpr_write_b32 a16, v56
	s_waitcnt vmcnt(3)
	v_mul_f32_e32 v14, v9, v53
	v_fmac_f32_e32 v14, v8, v52
	v_mul_f32_e32 v8, v8, v53
	v_fma_f32 v15, v9, v52, -v8
	v_accvgpr_write_b32 a8, v50
	s_waitcnt vmcnt(2)
	v_mul_f32_e32 v8, v7, v45
	v_fmac_f32_e32 v8, v6, v44
	v_mul_f32_e32 v6, v6, v45
	v_fma_f32 v9, v7, v44, -v6
	v_add_u32_e32 v6, 0x1000, v152
	v_accvgpr_write_b32 a6, v48
	v_accvgpr_write_b32 a42, v70
	;; [unrolled: 1-line block ×5, first 2 shown]
	v_mul_f32_e32 v10, v39, v61
	v_mul_f32_e32 v11, v38, v61
	v_accvgpr_write_b32 a24, v60
	v_accvgpr_write_b32 a4, v46
	;; [unrolled: 1-line block ×4, first 2 shown]
	ds_write2_b64 v6, v[12:13], v[8:9] offset0:48 offset1:104
	s_waitcnt vmcnt(0)
	v_mul_f32_e32 v8, v17, v43
	v_mul_f32_e32 v7, v16, v43
	v_accvgpr_write_b32 a10, v42
	v_accvgpr_write_b32 a19, v59
	;; [unrolled: 1-line block ×11, first 2 shown]
	v_fmac_f32_e32 v10, v38, v60
	v_accvgpr_write_b32 a25, v61
	v_fma_f32 v11, v39, v60, -v11
	v_accvgpr_write_b32 a5, v47
	v_accvgpr_write_b32 a13, v53
	;; [unrolled: 1-line block ×3, first 2 shown]
	v_fmac_f32_e32 v8, v16, v42
	v_accvgpr_write_b32 a11, v43
	v_fma_f32 v9, v17, v42, -v7
	v_cmp_gt_u16_e64 s[6:7], 28, v170
	ds_write2_b64 v5, v[10:11], v[14:15] offset0:180 offset1:236
	ds_write_b64 v152, v[8:9] offset:10528
	s_and_saveexec_b64 s[4:5], s[6:7]
	s_cbranch_execz .LBB0_3
; %bb.2:
	v_accvgpr_read_b32 v13, a1
	v_accvgpr_read_b32 v12, a0
	v_add_co_u32_e32 v10, vcc, 0x1000, v12
	v_lshl_add_u64 v[0:1], s[18:19], 3, v[0:1]
	s_nop 0
	v_addc_co_u32_e32 v11, vcc, 0, v13, vcc
	v_add_co_u32_e32 v12, vcc, 0x2000, v12
	global_load_dwordx2 v[8:9], v[0:1], off
	v_lshl_add_u64 v[0:1], s[2:3], 3, v[0:1]
	global_load_dwordx2 v[10:11], v[10:11], off offset:1280
	v_addc_co_u32_e32 v13, vcc, 0, v13, vcc
	global_load_dwordx2 v[12:13], v[12:13], off offset:2784
	s_waitcnt vmcnt(1)
	v_mul_f32_e32 v14, v9, v11
	global_load_dwordx2 v[0:1], v[0:1], off
	v_mul_f32_e32 v7, v8, v11
	v_fmac_f32_e32 v14, v8, v10
	v_fma_f32 v15, v9, v10, -v7
	ds_write_b64 v152, v[14:15] offset:5376
	s_waitcnt vmcnt(0)
	v_mul_f32_e32 v8, v1, v13
	v_mul_f32_e32 v7, v0, v13
	v_fmac_f32_e32 v8, v0, v12
	v_fma_f32 v9, v1, v12, -v7
	ds_write_b64 v152, v[8:9] offset:10976
.LBB0_3:
	s_or_b64 exec, exec, s[4:5]
	s_waitcnt lgkmcnt(0)
	; wave barrier
	s_waitcnt lgkmcnt(0)
	ds_read2_b64 v[24:27], v152 offset1:56
	ds_read2_b64 v[44:47], v6 offset0:188 offset1:244
	ds_read2_b64 v[20:23], v152 offset0:112 offset1:168
	;; [unrolled: 1-line block ×10, first 2 shown]
	v_add_u32_e32 v0, 0x2400, v152
	ds_read2_b64 v[0:3], v0 offset0:108 offset1:164
                                        ; implicit-def: $vgpr48
                                        ; implicit-def: $vgpr50
	s_and_saveexec_b64 s[2:3], s[6:7]
	s_cbranch_execz .LBB0_5
; %bb.4:
	ds_read_b64 v[48:49], v152 offset:5376
	ds_read_b64 v[50:51], v152 offset:10976
.LBB0_5:
	s_or_b64 exec, exec, s[2:3]
	s_mov_b64 s[2:3], 0x70
	v_lshl_add_u64 v[112:113], v[170:171], 0, s[2:3]
	s_mov_b64 s[2:3], 0xa8
	s_waitcnt lgkmcnt(10)
	v_pk_add_f32 v[44:45], v[24:25], v[44:45] neg_lo:[0,1] neg_hi:[0,1]
	v_lshl_add_u64 v[114:115], v[170:171], 0, 56
	v_lshl_add_u64 v[110:111], v[170:171], 0, s[2:3]
	s_mov_b64 s[2:3], 0xe0
	v_pk_add_f32 v[46:47], v[26:27], v[46:47] neg_lo:[0,1] neg_hi:[0,1]
	s_waitcnt lgkmcnt(8)
	v_pk_add_f32 v[40:41], v[20:21], v[40:41] neg_lo:[0,1] neg_hi:[0,1]
	v_pk_add_f32 v[64:65], v[22:23], v[42:43] neg_lo:[0,1] neg_hi:[0,1]
	v_lshlrev_b32_e32 v155, 4, v170
	v_pk_fma_f32 v[42:43], v[24:25], 2.0, v[44:45] op_sel_hi:[1,0,1] neg_lo:[0,0,1] neg_hi:[0,0,1]
	v_lshl_add_u64 v[108:109], v[170:171], 0, s[2:3]
	v_lshlrev_b32_e32 v54, 1, v170
	s_waitcnt lgkmcnt(6)
	v_pk_add_f32 v[36:37], v[16:17], v[36:37] neg_lo:[0,1] neg_hi:[0,1]
	v_pk_add_f32 v[66:67], v[18:19], v[38:39] neg_lo:[0,1] neg_hi:[0,1]
	s_waitcnt lgkmcnt(0)
	; wave barrier
	s_waitcnt lgkmcnt(0)
	ds_write_b128 v155, v[42:45]
	v_lshlrev_b32_e32 v156, 4, v114
	v_pk_fma_f32 v[44:45], v[26:27], 2.0, v[46:47] op_sel_hi:[1,0,1] neg_lo:[0,0,1] neg_hi:[0,0,1]
	v_lshlrev_b32_e32 v157, 4, v112
	v_pk_fma_f32 v[38:39], v[20:21], 2.0, v[40:41] op_sel_hi:[1,0,1] neg_lo:[0,0,1] neg_hi:[0,0,1]
	;; [unrolled: 2-line block ×3, first 2 shown]
	s_load_dwordx2 s[0:1], s[0:1], 0x8
	v_pk_add_f32 v[68:69], v[14:15], v[34:35] neg_lo:[0,1] neg_hi:[0,1]
	ds_write_b128 v156, v[44:47]
	ds_write_b128 v157, v[38:41]
	;; [unrolled: 1-line block ×3, first 2 shown]
	v_lshlrev_b32_e32 v159, 4, v108
	v_pk_fma_f32 v[34:35], v[16:17], 2.0, v[36:37] op_sel_hi:[1,0,1] neg_lo:[0,0,1] neg_hi:[0,0,1]
	v_pk_fma_f32 v[64:65], v[18:19], 2.0, v[66:67] op_sel_hi:[1,0,1] neg_lo:[0,0,1] neg_hi:[0,0,1]
	v_lshlrev_b32_e32 v16, 3, v54
	v_pk_add_f32 v[32:33], v[12:13], v[32:33] neg_lo:[0,1] neg_hi:[0,1]
	v_pk_add_f32 v[28:29], v[8:9], v[28:29] neg_lo:[0,1] neg_hi:[0,1]
	;; [unrolled: 1-line block ×3, first 2 shown]
	ds_write_b128 v159, v[34:37]
	ds_write_b128 v16, v[64:67] offset:4480
	v_pk_fma_f32 v[66:67], v[14:15], 2.0, v[68:69] op_sel_hi:[1,0,1] neg_lo:[0,0,1] neg_hi:[0,0,1]
	s_mov_b64 s[2:3], 0x2a0
	v_pk_add_f32 v[72:73], v[4:5], v[0:1] neg_lo:[0,1] neg_hi:[0,1]
	v_pk_fma_f32 v[30:31], v[12:13], 2.0, v[32:33] op_sel_hi:[1,0,1] neg_lo:[0,0,1] neg_hi:[0,0,1]
	ds_write_b128 v16, v[66:69] offset:6272
	v_lshlrev_b32_e32 v161, 4, v169
	v_pk_fma_f32 v[26:27], v[8:9], 2.0, v[28:29] op_sel_hi:[1,0,1] neg_lo:[0,0,1] neg_hi:[0,0,1]
	v_pk_fma_f32 v[68:69], v[10:11], 2.0, v[70:71] op_sel_hi:[1,0,1] neg_lo:[0,0,1] neg_hi:[0,0,1]
	v_lshl_add_u64 v[52:53], v[170:171], 0, s[2:3]
	v_pk_add_f32 v[74:75], v[6:7], v[2:3] neg_lo:[0,1] neg_hi:[0,1]
	v_pk_add_f32 v[2:3], v[48:49], v[50:51] neg_lo:[0,1] neg_hi:[0,1]
	ds_write_b128 v16, v[30:33] offset:5376
	ds_write_b128 v161, v[26:29]
	ds_write_b128 v16, v[68:71] offset:8064
	v_pk_fma_f32 v[70:71], v[4:5], 2.0, v[72:73] op_sel_hi:[1,0,1] neg_lo:[0,0,1] neg_hi:[0,0,1]
	v_pk_fma_f32 v[0:1], v[48:49], 2.0, v[2:3] op_sel_hi:[1,0,1] neg_lo:[0,0,1] neg_hi:[0,0,1]
	v_lshlrev_b32_e32 v60, 1, v114
	v_lshlrev_b32_e32 v58, 1, v112
	;; [unrolled: 1-line block ×4, first 2 shown]
	v_add_u32_e32 v240, 0x230, v54
	v_add_u32_e32 v239, 0x2a0, v54
	;; [unrolled: 1-line block ×3, first 2 shown]
	v_lshlrev_b32_e32 v53, 1, v169
	v_add_u32_e32 v244, 0x3f0, v54
	v_add_u32_e32 v247, 0x460, v54
	ds_write_b128 v16, v[70:73] offset:8960
	v_add_u32_e32 v254, 0x4d0, v54
	v_pk_fma_f32 v[72:73], v[6:7], 2.0, v[74:75] op_sel_hi:[1,0,1] neg_lo:[0,0,1] neg_hi:[0,0,1]
	v_lshlrev_b32_e32 v160, 4, v52
	ds_write_b128 v16, v[72:75] offset:9856
	s_and_saveexec_b64 s[2:3], s[6:7]
	s_cbranch_execz .LBB0_7
; %bb.6:
	ds_write_b128 v160, v[0:3]
.LBB0_7:
	s_or_b64 exec, exec, s[2:3]
	v_add_u32_e32 v4, 0x1000, v152
	v_add_u32_e32 v5, 0x1800, v152
	;; [unrolled: 1-line block ×3, first 2 shown]
	s_waitcnt lgkmcnt(0)
	; wave barrier
	s_waitcnt lgkmcnt(0)
	ds_read2_b64 v[20:23], v152 offset1:56
	ds_read2_b64 v[48:51], v4 offset0:188 offset1:244
	ds_read2_b64 v[24:27], v152 offset0:112 offset1:168
	;; [unrolled: 1-line block ×5, first 2 shown]
	v_add_u32_e32 v5, 0x800, v152
	v_add_u32_e32 v6, 0x2000, v152
	ds_read2_b64 v[32:35], v5 offset0:80 offset1:136
	ds_read2_b64 v[40:43], v6 offset0:12 offset1:68
	;; [unrolled: 1-line block ×5, first 2 shown]
	v_add_u32_e32 v8, 0x2400, v152
	ds_read2_b64 v[8:11], v8 offset0:108 offset1:164
	s_and_saveexec_b64 s[2:3], s[6:7]
	s_cbranch_execz .LBB0_9
; %bb.8:
	ds_read_b64 v[0:1], v152 offset:5376
	ds_read_b64 v[2:3], v152 offset:10976
.LBB0_9:
	s_or_b64 exec, exec, s[2:3]
	v_and_b32_e32 v171, 1, v170
	v_lshlrev_b32_e32 v56, 3, v171
	global_load_dwordx2 v[208:209], v56, s[0:1]
	s_movk_i32 s2, 0x7c
	s_movk_i32 s3, 0xfc
	;; [unrolled: 1-line block ×5, first 2 shown]
	v_and_or_b32 v56, v54, s2, v171
	v_and_or_b32 v57, v60, s3, v171
	;; [unrolled: 1-line block ×7, first 2 shown]
	v_lshlrev_b32_e32 v172, 3, v56
	v_lshlrev_b32_e32 v168, 3, v57
	v_lshlrev_b32_e32 v166, 3, v62
	v_lshlrev_b32_e32 v165, 3, v63
	v_lshlrev_b32_e32 v164, 3, v64
	v_lshlrev_b32_e32 v163, 3, v65
	v_lshlrev_b32_e32 v162, 3, v66
	v_and_or_b32 v61, v58, s4, v171
	s_waitcnt lgkmcnt(0)
	; wave barrier
	s_waitcnt lgkmcnt(0)
	v_lshlrev_b32_e32 v167, 3, v61
	s_movk_i32 s2, 0x7fc
	v_lshlrev_b32_e32 v154, 1, v52
	s_waitcnt vmcnt(0)
	v_pk_mul_f32 v[56:57], v[2:3], v[208:209] op_sel:[1,0]
	v_pk_mul_f32 v[62:63], v[48:49], v[208:209] op_sel:[0,1]
	;; [unrolled: 1-line block ×9, first 2 shown]
	v_pk_fma_f32 v[78:79], v[2:3], v[208:209], v[56:57] op_sel:[0,0,1] op_sel_hi:[1,1,0] neg_lo:[0,0,1] neg_hi:[0,0,1]
	v_pk_fma_f32 v[2:3], v[2:3], v[208:209], v[56:57] op_sel:[0,0,1] op_sel_hi:[0,1,0]
	v_pk_fma_f32 v[56:57], v[48:49], v[208:209], v[62:63] op_sel:[0,0,1] op_sel_hi:[1,1,0] neg_lo:[0,0,1] neg_hi:[0,0,1]
	v_pk_fma_f32 v[48:49], v[48:49], v[208:209], v[62:63] op_sel:[0,0,1] op_sel_hi:[1,0,0]
	;; [unrolled: 2-line block ×9, first 2 shown]
	v_mov_b32_e32 v79, v3
	v_mov_b32_e32 v57, v49
	;; [unrolled: 1-line block ×9, first 2 shown]
	v_pk_add_f32 v[50:51], v[0:1], v[78:79] neg_lo:[0,1] neg_hi:[0,1]
	v_pk_add_f32 v[2:3], v[20:21], v[56:57] neg_lo:[0,1] neg_hi:[0,1]
	;; [unrolled: 1-line block ×9, first 2 shown]
	v_pk_fma_f32 v[48:49], v[0:1], 2.0, v[50:51] op_sel_hi:[1,0,1] neg_lo:[0,0,1] neg_hi:[0,0,1]
	v_pk_fma_f32 v[0:1], v[20:21], 2.0, v[2:3] op_sel_hi:[1,0,1] neg_lo:[0,0,1] neg_hi:[0,0,1]
	;; [unrolled: 1-line block ×9, first 2 shown]
	ds_write2_b64 v172, v[0:1], v[2:3] offset1:2
	ds_write2_b64 v168, v[20:21], v[36:37] offset1:2
	;; [unrolled: 1-line block ×8, first 2 shown]
	v_and_or_b32 v0, v53, s5, v171
	v_lshlrev_b32_e32 v174, 3, v0
	v_pk_mul_f32 v[0:1], v[16:17], v[208:209] op_sel:[0,1]
	s_nop 0
	v_pk_fma_f32 v[2:3], v[16:17], v[208:209], v[0:1] op_sel:[0,0,1] op_sel_hi:[1,1,0] neg_lo:[0,0,1] neg_hi:[0,0,1]
	v_pk_fma_f32 v[0:1], v[16:17], v[208:209], v[0:1] op_sel:[0,0,1] op_sel_hi:[1,0,0]
	s_nop 0
	v_mov_b32_e32 v3, v1
	v_pk_add_f32 v[0:1], v[12:13], v[2:3] neg_lo:[0,1] neg_hi:[0,1]
	s_nop 0
	v_pk_fma_f32 v[2:3], v[12:13], 2.0, v[0:1] op_sel_hi:[1,0,1] neg_lo:[0,0,1] neg_hi:[0,0,1]
	ds_write2_b64 v174, v[2:3], v[0:1] offset1:2
	v_and_or_b32 v0, v244, s2, v171
	v_lshlrev_b32_e32 v176, 3, v0
	v_pk_mul_f32 v[0:1], v[18:19], v[208:209] op_sel:[0,1]
	s_movk_i32 s2, 0x4fc
	v_pk_fma_f32 v[2:3], v[18:19], v[208:209], v[0:1] op_sel:[0,0,1] op_sel_hi:[1,1,0] neg_lo:[0,0,1] neg_hi:[0,0,1]
	v_pk_fma_f32 v[0:1], v[18:19], v[208:209], v[0:1] op_sel:[0,0,1] op_sel_hi:[1,0,0]
	s_nop 0
	v_mov_b32_e32 v3, v1
	v_pk_add_f32 v[0:1], v[14:15], v[2:3] neg_lo:[0,1] neg_hi:[0,1]
	s_nop 0
	v_pk_fma_f32 v[2:3], v[14:15], 2.0, v[0:1] op_sel_hi:[1,0,1] neg_lo:[0,0,1] neg_hi:[0,0,1]
	ds_write2_b64 v176, v[2:3], v[0:1] offset1:2
	v_and_or_b32 v0, v247, s2, v171
	v_lshlrev_b32_e32 v177, 3, v0
	v_pk_mul_f32 v[0:1], v[8:9], v[208:209] op_sel:[0,1]
	s_movk_i32 s2, 0x5fc
	v_pk_fma_f32 v[2:3], v[8:9], v[208:209], v[0:1] op_sel:[0,0,1] op_sel_hi:[1,1,0] neg_lo:[0,0,1] neg_hi:[0,0,1]
	v_pk_fma_f32 v[0:1], v[8:9], v[208:209], v[0:1] op_sel:[0,0,1] op_sel_hi:[1,0,0]
	s_nop 0
	v_mov_b32_e32 v3, v1
	v_pk_add_f32 v[0:1], v[4:5], v[2:3] neg_lo:[0,1] neg_hi:[0,1]
	s_nop 0
	v_pk_fma_f32 v[2:3], v[4:5], 2.0, v[0:1] op_sel_hi:[1,0,1] neg_lo:[0,0,1] neg_hi:[0,0,1]
	ds_write2_b64 v177, v[2:3], v[0:1] offset1:2
	v_and_or_b32 v0, v254, s2, v171
	v_lshlrev_b32_e32 v180, 3, v0
	v_pk_mul_f32 v[0:1], v[10:11], v[208:209] op_sel:[0,1]
	s_nop 0
	v_pk_fma_f32 v[2:3], v[10:11], v[208:209], v[0:1] op_sel:[0,0,1] op_sel_hi:[1,1,0] neg_lo:[0,0,1] neg_hi:[0,0,1]
	v_pk_fma_f32 v[0:1], v[10:11], v[208:209], v[0:1] op_sel:[0,0,1] op_sel_hi:[1,0,0]
	s_nop 0
	v_mov_b32_e32 v3, v1
	v_pk_add_f32 v[0:1], v[6:7], v[2:3] neg_lo:[0,1] neg_hi:[0,1]
	s_nop 0
	v_pk_fma_f32 v[2:3], v[6:7], 2.0, v[0:1] op_sel_hi:[1,0,1] neg_lo:[0,0,1] neg_hi:[0,0,1]
	ds_write2_b64 v180, v[2:3], v[0:1] offset1:2
	s_and_saveexec_b64 s[2:3], s[6:7]
	s_cbranch_execz .LBB0_11
; %bb.10:
	s_movk_i32 s4, 0x57c
	v_and_or_b32 v0, v154, s4, v171
	v_lshlrev_b32_e32 v0, 3, v0
	ds_write2_b64 v0, v[48:49], v[50:51] offset1:2
.LBB0_11:
	s_or_b64 exec, exec, s[2:3]
	v_add_u32_e32 v0, 0x1000, v152
	v_add_u32_e32 v1, 0x1800, v152
	;; [unrolled: 1-line block ×3, first 2 shown]
	s_waitcnt lgkmcnt(0)
	; wave barrier
	s_waitcnt lgkmcnt(0)
	ds_read2_b64 v[40:43], v152 offset1:56
	ds_read2_b64 v[44:47], v0 offset0:188 offset1:244
	ds_read2_b64 v[32:35], v152 offset0:112 offset1:168
	;; [unrolled: 1-line block ×5, first 2 shown]
	v_add_u32_e32 v1, 0x800, v152
	v_add_u32_e32 v2, 0x2000, v152
	ds_read2_b64 v[16:19], v1 offset0:80 offset1:136
	ds_read2_b64 v[20:23], v2 offset0:12 offset1:68
	;; [unrolled: 1-line block ×5, first 2 shown]
	v_add_u32_e32 v4, 0x2400, v152
	ds_read2_b64 v[4:7], v4 offset0:108 offset1:164
	s_and_saveexec_b64 s[2:3], s[6:7]
	s_cbranch_execz .LBB0_13
; %bb.12:
	ds_read_b64 v[48:49], v152 offset:5376
	ds_read_b64 v[50:51], v152 offset:10976
.LBB0_13:
	s_or_b64 exec, exec, s[2:3]
	v_and_b32_e32 v222, 3, v170
	v_lshlrev_b32_e32 v52, 3, v222
	global_load_dwordx2 v[210:211], v52, s[0:1] offset:16
	s_movk_i32 s2, 0x78
	s_waitcnt lgkmcnt(0)
	; wave barrier
	s_waitcnt lgkmcnt(0)
	s_movk_i32 s3, 0x2f8
	s_waitcnt vmcnt(0)
	v_pk_mul_f32 v[56:57], v[50:51], v[210:211] op_sel:[1,0]
	s_nop 0
	v_pk_fma_f32 v[62:63], v[50:51], v[210:211], v[56:57] op_sel:[0,0,1] op_sel_hi:[1,1,0] neg_lo:[0,0,1] neg_hi:[0,0,1]
	v_pk_fma_f32 v[50:51], v[50:51], v[210:211], v[56:57] op_sel:[0,0,1] op_sel_hi:[0,1,0]
	v_and_or_b32 v50, v54, s2, v222
	v_mov_b32_e32 v63, v51
	v_lshlrev_b32_e32 v173, 3, v50
	v_pk_mul_f32 v[50:51], v[44:45], v[210:211] op_sel:[0,1]
	v_pk_add_f32 v[56:57], v[48:49], v[62:63] neg_lo:[0,1] neg_hi:[0,1]
	v_pk_fma_f32 v[62:63], v[44:45], v[210:211], v[50:51] op_sel:[0,0,1] op_sel_hi:[1,1,0] neg_lo:[0,0,1] neg_hi:[0,0,1]
	v_pk_fma_f32 v[44:45], v[44:45], v[210:211], v[50:51] op_sel:[0,0,1] op_sel_hi:[1,0,0]
	s_movk_i32 s2, 0xf8
	v_mov_b32_e32 v63, v45
	v_pk_add_f32 v[44:45], v[40:41], v[62:63] neg_lo:[0,1] neg_hi:[0,1]
	s_nop 0
	v_pk_fma_f32 v[40:41], v[40:41], 2.0, v[44:45] op_sel_hi:[1,0,1] neg_lo:[0,0,1] neg_hi:[0,0,1]
	ds_write2_b64 v173, v[40:41], v[44:45] offset1:4
	v_and_or_b32 v40, v60, s2, v222
	v_lshlrev_b32_e32 v181, 3, v40
	v_pk_mul_f32 v[40:41], v[46:47], v[210:211] op_sel:[0,1]
	s_movk_i32 s2, 0x1f8
	v_pk_fma_f32 v[44:45], v[46:47], v[210:211], v[40:41] op_sel:[0,0,1] op_sel_hi:[1,1,0] neg_lo:[0,0,1] neg_hi:[0,0,1]
	v_pk_fma_f32 v[40:41], v[46:47], v[210:211], v[40:41] op_sel:[0,0,1] op_sel_hi:[1,0,0]
	s_nop 0
	v_mov_b32_e32 v45, v41
	v_pk_add_f32 v[40:41], v[42:43], v[44:45] neg_lo:[0,1] neg_hi:[0,1]
	s_nop 0
	v_pk_fma_f32 v[42:43], v[42:43], 2.0, v[40:41] op_sel_hi:[1,0,1] neg_lo:[0,0,1] neg_hi:[0,0,1]
	ds_write2_b64 v181, v[42:43], v[40:41] offset1:4
	v_and_or_b32 v40, v58, s2, v222
	v_lshlrev_b32_e32 v182, 3, v40
	v_pk_mul_f32 v[40:41], v[36:37], v[210:211] op_sel:[0,1]
	s_nop 0
	v_pk_fma_f32 v[42:43], v[36:37], v[210:211], v[40:41] op_sel:[0,0,1] op_sel_hi:[1,1,0] neg_lo:[0,0,1] neg_hi:[0,0,1]
	v_pk_fma_f32 v[36:37], v[36:37], v[210:211], v[40:41] op_sel:[0,0,1] op_sel_hi:[1,0,0]
	s_nop 0
	v_mov_b32_e32 v43, v37
	v_pk_add_f32 v[36:37], v[32:33], v[42:43] neg_lo:[0,1] neg_hi:[0,1]
	s_nop 0
	v_pk_fma_f32 v[32:33], v[32:33], 2.0, v[36:37] op_sel_hi:[1,0,1] neg_lo:[0,0,1] neg_hi:[0,0,1]
	ds_write2_b64 v182, v[32:33], v[36:37] offset1:4
	v_and_or_b32 v32, v59, s2, v222
	v_lshlrev_b32_e32 v183, 3, v32
	v_pk_mul_f32 v[32:33], v[38:39], v[210:211] op_sel:[0,1]
	s_movk_i32 s2, 0x3f8
	v_pk_fma_f32 v[36:37], v[38:39], v[210:211], v[32:33] op_sel:[0,0,1] op_sel_hi:[1,1,0] neg_lo:[0,0,1] neg_hi:[0,0,1]
	v_pk_fma_f32 v[32:33], v[38:39], v[210:211], v[32:33] op_sel:[0,0,1] op_sel_hi:[1,0,0]
	s_nop 0
	v_mov_b32_e32 v37, v33
	v_pk_add_f32 v[32:33], v[34:35], v[36:37] neg_lo:[0,1] neg_hi:[0,1]
	s_nop 0
	v_pk_fma_f32 v[34:35], v[34:35], 2.0, v[32:33] op_sel_hi:[1,0,1] neg_lo:[0,0,1] neg_hi:[0,0,1]
	ds_write2_b64 v183, v[34:35], v[32:33] offset1:4
	v_and_or_b32 v32, v55, s2, v222
	v_lshlrev_b32_e32 v184, 3, v32
	v_pk_mul_f32 v[32:33], v[28:29], v[210:211] op_sel:[0,1]
	s_nop 0
	v_pk_fma_f32 v[34:35], v[28:29], v[210:211], v[32:33] op_sel:[0,0,1] op_sel_hi:[1,1,0] neg_lo:[0,0,1] neg_hi:[0,0,1]
	v_pk_fma_f32 v[28:29], v[28:29], v[210:211], v[32:33] op_sel:[0,0,1] op_sel_hi:[1,0,0]
	s_nop 0
	v_mov_b32_e32 v35, v29
	v_pk_add_f32 v[28:29], v[24:25], v[34:35] neg_lo:[0,1] neg_hi:[0,1]
	s_nop 0
	v_pk_fma_f32 v[24:25], v[24:25], 2.0, v[28:29] op_sel_hi:[1,0,1] neg_lo:[0,0,1] neg_hi:[0,0,1]
	ds_write2_b64 v184, v[24:25], v[28:29] offset1:4
	v_and_or_b32 v24, v240, s3, v222
	v_lshlrev_b32_e32 v185, 3, v24
	v_pk_mul_f32 v[24:25], v[30:31], v[210:211] op_sel:[0,1]
	s_nop 0
	;; [unrolled: 12-line block ×4, first 2 shown]
	v_pk_fma_f32 v[20:21], v[22:23], v[210:211], v[16:17] op_sel:[0,0,1] op_sel_hi:[1,1,0] neg_lo:[0,0,1] neg_hi:[0,0,1]
	v_pk_fma_f32 v[16:17], v[22:23], v[210:211], v[16:17] op_sel:[0,0,1] op_sel_hi:[1,0,0]
	s_nop 0
	v_mov_b32_e32 v21, v17
	v_pk_add_f32 v[16:17], v[18:19], v[20:21] neg_lo:[0,1] neg_hi:[0,1]
	s_nop 0
	v_pk_fma_f32 v[18:19], v[18:19], 2.0, v[16:17] op_sel_hi:[1,0,1] neg_lo:[0,0,1] neg_hi:[0,0,1]
	ds_write2_b64 v187, v[18:19], v[16:17] offset1:4
	v_and_or_b32 v16, v53, s2, v222
	v_lshlrev_b32_e32 v188, 3, v16
	v_pk_mul_f32 v[16:17], v[12:13], v[210:211] op_sel:[0,1]
	s_movk_i32 s2, 0x7f8
	v_pk_fma_f32 v[18:19], v[12:13], v[210:211], v[16:17] op_sel:[0,0,1] op_sel_hi:[1,1,0] neg_lo:[0,0,1] neg_hi:[0,0,1]
	v_pk_fma_f32 v[12:13], v[12:13], v[210:211], v[16:17] op_sel:[0,0,1] op_sel_hi:[1,0,0]
	s_nop 0
	v_mov_b32_e32 v19, v13
	v_pk_add_f32 v[12:13], v[8:9], v[18:19] neg_lo:[0,1] neg_hi:[0,1]
	s_nop 0
	v_pk_fma_f32 v[8:9], v[8:9], 2.0, v[12:13] op_sel_hi:[1,0,1] neg_lo:[0,0,1] neg_hi:[0,0,1]
	ds_write2_b64 v188, v[8:9], v[12:13] offset1:4
	v_and_or_b32 v8, v244, s2, v222
	v_lshlrev_b32_e32 v189, 3, v8
	v_pk_mul_f32 v[8:9], v[14:15], v[210:211] op_sel:[0,1]
	s_movk_i32 s2, 0x4f8
	;; [unrolled: 12-line block ×3, first 2 shown]
	v_pk_fma_f32 v[10:11], v[4:5], v[210:211], v[8:9] op_sel:[0,0,1] op_sel_hi:[1,1,0] neg_lo:[0,0,1] neg_hi:[0,0,1]
	v_pk_fma_f32 v[4:5], v[4:5], v[210:211], v[8:9] op_sel:[0,0,1] op_sel_hi:[1,0,0]
	s_nop 0
	v_mov_b32_e32 v11, v5
	v_pk_add_f32 v[4:5], v[0:1], v[10:11] neg_lo:[0,1] neg_hi:[0,1]
	s_nop 0
	v_pk_fma_f32 v[0:1], v[0:1], 2.0, v[4:5] op_sel_hi:[1,0,1] neg_lo:[0,0,1] neg_hi:[0,0,1]
	ds_write2_b64 v190, v[0:1], v[4:5] offset1:4
	v_and_or_b32 v0, v254, s2, v222
	v_lshlrev_b32_e32 v191, 3, v0
	v_pk_mul_f32 v[0:1], v[6:7], v[210:211] op_sel:[0,1]
	s_nop 0
	v_pk_fma_f32 v[4:5], v[6:7], v[210:211], v[0:1] op_sel:[0,0,1] op_sel_hi:[1,1,0] neg_lo:[0,0,1] neg_hi:[0,0,1]
	v_pk_fma_f32 v[0:1], v[6:7], v[210:211], v[0:1] op_sel:[0,0,1] op_sel_hi:[1,0,0]
	s_nop 0
	v_mov_b32_e32 v5, v1
	v_pk_add_f32 v[0:1], v[2:3], v[4:5] neg_lo:[0,1] neg_hi:[0,1]
	s_nop 0
	v_pk_fma_f32 v[2:3], v[2:3], 2.0, v[0:1] op_sel_hi:[1,0,1] neg_lo:[0,0,1] neg_hi:[0,0,1]
	ds_write2_b64 v191, v[2:3], v[0:1] offset1:4
	s_and_saveexec_b64 s[2:3], s[6:7]
	s_cbranch_execz .LBB0_15
; %bb.14:
	s_movk_i32 s4, 0x578
	v_and_or_b32 v0, v154, s4, v222
	v_lshlrev_b32_e32 v2, 3, v0
	v_pk_fma_f32 v[0:1], v[48:49], 2.0, v[56:57] op_sel_hi:[1,0,1] neg_lo:[0,0,1] neg_hi:[0,0,1]
	ds_write2_b64 v2, v[0:1], v[56:57] offset1:4
.LBB0_15:
	s_or_b64 exec, exec, s[2:3]
	v_and_b32_e32 v96, 7, v170
	v_lshlrev_b32_e32 v0, 5, v96
	s_waitcnt lgkmcnt(0)
	; wave barrier
	s_waitcnt lgkmcnt(0)
	global_load_dwordx4 v[24:27], v0, s[0:1] offset:48
	global_load_dwordx4 v[20:23], v0, s[0:1] offset:64
	v_add_u32_e32 v0, 0x400, v152
	v_add_u32_e32 v106, 0x800, v152
	;; [unrolled: 1-line block ×4, first 2 shown]
	ds_read_b64 v[16:17], v152 offset:10752
	ds_read2_b64 v[4:7], v152 offset0:112 offset1:168
	ds_read2_b64 v[0:3], v0 offset0:96 offset1:152
	;; [unrolled: 1-line block ×5, first 2 shown]
	v_lshrrev_b32_e32 v9, 3, v170
	v_lshrrev_b32_e32 v10, 3, v114
	;; [unrolled: 1-line block ×4, first 2 shown]
	v_add_u32_e32 v109, 0x1000, v152
	v_add_u32_e32 v19, 0x2400, v152
	v_mul_u32_u24_e32 v8, 40, v9
	v_mul_u32_u24_e32 v9, 40, v10
	;; [unrolled: 1-line block ×4, first 2 shown]
	ds_read2_b64 v[46:49], v109 offset0:160 offset1:216
	ds_read2_b64 v[50:53], v19 offset0:80 offset1:136
	v_or_b32_e32 v10, v10, v96
	v_or_b32_e32 v11, v11, v96
	;; [unrolled: 1-line block ×4, first 2 shown]
	v_lshlrev_b32_e32 v228, 3, v10
	v_lshlrev_b32_e32 v223, 3, v11
	;; [unrolled: 1-line block ×4, first 2 shown]
	s_mov_b32 s4, 0x3f737871
	s_mov_b32 s14, 0x3f167918
	;; [unrolled: 1-line block ×3, first 2 shown]
                                        ; implicit-def: $vgpr141
                                        ; implicit-def: $vgpr142_vgpr143
	s_waitcnt vmcnt(1)
	v_mov_b32_e32 v62, v27
	s_waitcnt lgkmcnt(4)
	v_pk_mul_f32 v[10:11], v[14:15], v[24:25] op_sel:[0,1]
	s_waitcnt vmcnt(0) lgkmcnt(2)
	v_pk_mul_f32 v[18:19], v[44:45], v[20:21] op_sel:[0,1]
	v_mov_b32_e32 v64, v23
	v_pk_mul_f32 v[28:29], v[12:13], v[24:25] op_sel:[0,1]
	v_pk_mul_f32 v[30:31], v[38:39], v[62:63] op_sel_hi:[1,0]
	v_pk_fma_f32 v[8:9], v[14:15], v[24:25], v[10:11] op_sel:[0,0,1] op_sel_hi:[1,1,0] neg_lo:[0,0,1] neg_hi:[0,0,1]
	v_pk_fma_f32 v[14:15], v[14:15], v[24:25], v[10:11] op_sel:[0,0,1] op_sel_hi:[1,0,0]
	v_pk_fma_f32 v[10:11], v[44:45], v[20:21], v[18:19] op_sel:[0,0,1] op_sel_hi:[1,1,0] neg_lo:[0,0,1] neg_hi:[0,0,1]
	v_pk_fma_f32 v[18:19], v[44:45], v[20:21], v[18:19] op_sel:[0,0,1] op_sel_hi:[1,0,0]
	v_pk_mul_f32 v[34:35], v[16:17], v[64:65] op_sel_hi:[1,0]
	v_pk_fma_f32 v[32:33], v[12:13], v[24:25], v[28:29] op_sel:[0,0,1] op_sel_hi:[1,1,0] neg_lo:[0,0,1] neg_hi:[0,0,1]
	v_pk_fma_f32 v[28:29], v[12:13], v[24:25], v[28:29] op_sel:[0,0,1] op_sel_hi:[1,0,0]
	v_pk_fma_f32 v[12:13], v[38:39], v[26:27], v[30:31] op_sel:[0,0,1] op_sel_hi:[1,1,0] neg_lo:[0,0,1] neg_hi:[0,0,1]
	v_pk_fma_f32 v[30:31], v[38:39], v[26:27], v[30:31] op_sel:[0,0,1] op_sel_hi:[1,0,0]
	s_waitcnt lgkmcnt(1)
	v_pk_mul_f32 v[36:37], v[48:49], v[62:63] op_sel_hi:[1,0]
	v_mov_b32_e32 v9, v15
	v_mov_b32_e32 v11, v19
	v_pk_fma_f32 v[14:15], v[16:17], v[22:23], v[34:35] op_sel:[0,0,1] op_sel_hi:[1,1,0] neg_lo:[0,0,1] neg_hi:[0,0,1]
	v_pk_fma_f32 v[16:17], v[16:17], v[22:23], v[34:35] op_sel:[0,0,1] op_sel_hi:[1,0,0]
	v_mov_b32_e32 v13, v31
	v_pk_fma_f32 v[38:39], v[48:49], v[26:27], v[36:37] op_sel:[0,0,1] op_sel_hi:[1,1,0] neg_lo:[0,0,1] neg_hi:[0,0,1]
	v_pk_fma_f32 v[18:19], v[48:49], v[26:27], v[36:37] op_sel:[0,0,1] op_sel_hi:[1,0,0]
	v_mov_b32_e32 v15, v17
	v_pk_add_f32 v[16:17], v[12:13], v[10:11]
	v_pk_mul_f32 v[54:55], v[42:43], v[20:21] op_sel:[0,1]
	v_mov_b32_e32 v33, v29
	v_mov_b32_e32 v39, v19
	v_pk_add_f32 v[36:37], v[8:9], v[14:15] neg_lo:[0,1] neg_hi:[0,1]
	v_pk_add_f32 v[18:19], v[8:9], v[12:13] neg_lo:[0,1] neg_hi:[0,1]
	v_pk_add_f32 v[28:29], v[14:15], v[10:11] neg_lo:[0,1] neg_hi:[0,1]
	v_pk_add_f32 v[34:35], v[8:9], v[14:15]
	v_pk_add_f32 v[44:45], v[12:13], v[8:9] neg_lo:[0,1] neg_hi:[0,1]
	v_pk_add_f32 v[48:49], v[10:11], v[14:15] neg_lo:[0,1] neg_hi:[0,1]
	v_pk_fma_f32 v[58:59], v[16:17], 0.5, v[0:1] op_sel_hi:[1,0,1] neg_lo:[1,0,0] neg_hi:[1,0,0]
	v_pk_add_f32 v[30:31], v[12:13], v[10:11] neg_lo:[0,1] neg_hi:[0,1]
	v_pk_add_f32 v[16:17], v[18:19], v[28:29]
	v_pk_fma_f32 v[28:29], v[34:35], 0.5, v[0:1] op_sel_hi:[1,0,1] neg_lo:[1,0,0] neg_hi:[1,0,0]
	v_pk_add_f32 v[18:19], v[44:45], v[48:49]
	v_pk_fma_f32 v[34:35], v[36:37], s[4:5], v[58:59] op_sel:[1,0,0] op_sel_hi:[0,0,1]
	v_pk_fma_f32 v[44:45], v[36:37], s[4:5], v[58:59] op_sel:[1,0,0] op_sel_hi:[0,0,1] neg_lo:[1,0,0] neg_hi:[1,0,0]
	v_pk_fma_f32 v[66:67], v[42:43], v[20:21], v[54:55] op_sel:[0,0,1] op_sel_hi:[1,1,0] neg_lo:[0,0,1] neg_hi:[0,0,1]
	v_pk_fma_f32 v[42:43], v[42:43], v[20:21], v[54:55] op_sel:[0,0,1] op_sel_hi:[1,0,0]
	v_pk_fma_f32 v[48:49], v[30:31], s[4:5], v[28:29] op_sel:[1,0,0] op_sel_hi:[0,0,1]
	v_pk_fma_f32 v[58:59], v[30:31], s[4:5], v[28:29] op_sel:[1,0,0] op_sel_hi:[0,0,1] neg_lo:[1,0,0] neg_hi:[1,0,0]
	v_pk_fma_f32 v[28:29], v[30:31], s[14:15], v[44:45] op_sel:[1,0,0] op_sel_hi:[0,0,1] neg_lo:[1,0,0] neg_hi:[1,0,0]
	v_pk_fma_f32 v[30:31], v[30:31], s[14:15], v[34:35] op_sel:[1,0,0] op_sel_hi:[0,0,1]
	v_mov_b32_e32 v67, v43
	s_waitcnt lgkmcnt(0)
	v_pk_mul_f32 v[42:43], v[52:53], v[64:65] op_sel_hi:[1,0]
	v_mov_b32_e32 v44, v30
	v_mov_b32_e32 v45, v29
	v_pk_fma_f32 v[68:69], v[52:53], v[22:23], v[42:43] op_sel:[0,0,1] op_sel_hi:[1,1,0] neg_lo:[0,0,1] neg_hi:[0,0,1]
	v_pk_fma_f32 v[42:43], v[52:53], v[22:23], v[42:43] op_sel:[0,0,1] op_sel_hi:[1,0,0]
	v_pk_fma_f32 v[34:35], v[36:37], s[14:15], v[58:59] op_sel:[1,0,0] op_sel_hi:[0,0,1]
	v_pk_fma_f32 v[36:37], v[36:37], s[14:15], v[48:49] op_sel:[1,0,0] op_sel_hi:[0,0,1] neg_lo:[1,0,0] neg_hi:[1,0,0]
	v_pk_fma_f32 v[88:89], v[16:17], s[2:3], v[44:45] op_sel_hi:[1,0,1]
	v_mov_b32_e32 v69, v43
	ds_read2_b64 v[42:45], v106 offset0:80 offset1:136
	v_mov_b32_e32 v48, v36
	v_mov_b32_e32 v49, v35
	v_pk_fma_f32 v[104:105], v[18:19], s[2:3], v[48:49] op_sel_hi:[1,0,1]
	v_pk_add_f32 v[48:49], v[6:7], v[32:33]
	ds_read2_b64 v[52:55], v107 offset0:128 offset1:184
	v_pk_add_f32 v[48:49], v[48:49], v[38:39]
	v_add_u32_e32 v30, 0x2000, v152
	v_pk_add_f32 v[48:49], v[48:49], v[66:67]
	s_waitcnt lgkmcnt(1)
	v_pk_mul_f32 v[80:81], v[42:43], v[24:25] op_sel:[0,1]
	v_pk_add_f32 v[70:71], v[48:49], v[68:69]
	v_pk_mul_f32 v[48:49], v[44:45], v[24:25] op_sel:[0,1]
	v_pk_fma_f32 v[82:83], v[42:43], v[24:25], v[80:81] op_sel:[0,0,1] op_sel_hi:[1,1,0] neg_lo:[0,0,1] neg_hi:[0,0,1]
	v_pk_fma_f32 v[72:73], v[44:45], v[24:25], v[48:49] op_sel:[0,0,1] op_sel_hi:[1,1,0] neg_lo:[0,0,1] neg_hi:[0,0,1]
	v_pk_fma_f32 v[44:45], v[44:45], v[24:25], v[48:49] op_sel:[0,0,1] op_sel_hi:[1,0,0]
	v_pk_fma_f32 v[42:43], v[42:43], v[24:25], v[80:81] op_sel:[0,0,1] op_sel_hi:[1,0,0]
	v_mov_b32_e32 v73, v45
	v_pk_mul_f32 v[44:45], v[46:47], v[62:63] op_sel_hi:[1,0]
	v_mov_b32_e32 v83, v43
	v_pk_fma_f32 v[74:75], v[46:47], v[26:27], v[44:45] op_sel:[0,0,1] op_sel_hi:[1,1,0] neg_lo:[0,0,1] neg_hi:[0,0,1]
	v_pk_fma_f32 v[44:45], v[46:47], v[26:27], v[44:45] op_sel:[0,0,1] op_sel_hi:[1,0,0]
	v_pk_add_f32 v[0:1], v[0:1], v[8:9]
	v_mov_b32_e32 v75, v45
	s_waitcnt lgkmcnt(0)
	v_pk_mul_f32 v[44:45], v[54:55], v[20:21] op_sel:[0,1]
	v_pk_add_f32 v[0:1], v[0:1], v[12:13]
	v_pk_fma_f32 v[76:77], v[54:55], v[20:21], v[44:45] op_sel:[0,0,1] op_sel_hi:[1,1,0] neg_lo:[0,0,1] neg_hi:[0,0,1]
	v_pk_fma_f32 v[44:45], v[54:55], v[20:21], v[44:45] op_sel:[0,0,1] op_sel_hi:[1,0,0]
	v_pk_add_f32 v[0:1], v[0:1], v[10:11]
	v_mov_b32_e32 v77, v45
	v_pk_mul_f32 v[44:45], v[50:51], v[64:65] op_sel_hi:[1,0]
	v_pk_add_f32 v[0:1], v[0:1], v[14:15]
	v_pk_fma_f32 v[54:55], v[50:51], v[22:23], v[44:45] op_sel:[0,0,1] op_sel_hi:[1,1,0] neg_lo:[0,0,1] neg_hi:[0,0,1]
	v_pk_fma_f32 v[44:45], v[50:51], v[22:23], v[44:45] op_sel:[0,0,1] op_sel_hi:[1,0,0]
	v_mov_b32_e32 v35, v37
	v_mov_b32_e32 v55, v45
	v_pk_add_f32 v[44:45], v[4:5], v[72:73]
	v_mov_b32_e32 v29, v31
	v_pk_add_f32 v[44:45], v[44:45], v[74:75]
	v_pk_fma_f32 v[138:139], v[16:17], s[2:3], v[28:29] op_sel_hi:[1,0,1]
	v_pk_add_f32 v[44:45], v[44:45], v[76:77]
	s_nop 0
	v_pk_add_f32 v[78:79], v[44:45], v[54:55]
	ds_read2_b64 v[44:47], v152 offset1:56
	ds_read2_b64 v[48:51], v109 offset0:48 offset1:104
	ds_read2_b64 v[58:61], v30 offset0:96 offset1:152
	s_waitcnt lgkmcnt(0)
	; wave barrier
	s_waitcnt lgkmcnt(0)
	v_pk_mul_f32 v[42:43], v[50:51], v[62:63] op_sel_hi:[1,0]
	s_nop 0
	v_pk_fma_f32 v[80:81], v[50:51], v[26:27], v[42:43] op_sel:[0,0,1] op_sel_hi:[1,1,0] neg_lo:[0,0,1] neg_hi:[0,0,1]
	v_pk_fma_f32 v[42:43], v[50:51], v[26:27], v[42:43] op_sel:[0,0,1] op_sel_hi:[1,0,0]
	s_nop 0
	v_mov_b32_e32 v81, v43
	v_pk_mul_f32 v[42:43], v[52:53], v[20:21] op_sel:[0,1]
	s_nop 0
	v_pk_fma_f32 v[50:51], v[52:53], v[20:21], v[42:43] op_sel:[0,0,1] op_sel_hi:[1,1,0] neg_lo:[0,0,1] neg_hi:[0,0,1]
	v_pk_fma_f32 v[42:43], v[52:53], v[20:21], v[42:43] op_sel:[0,0,1] op_sel_hi:[1,0,0]
	s_nop 0
	v_mov_b32_e32 v51, v43
	v_pk_mul_f32 v[42:43], v[60:61], v[64:65] op_sel_hi:[1,0]
	s_nop 0
	v_pk_fma_f32 v[52:53], v[60:61], v[22:23], v[42:43] op_sel:[0,0,1] op_sel_hi:[1,1,0] neg_lo:[0,0,1] neg_hi:[0,0,1]
	v_pk_fma_f32 v[42:43], v[60:61], v[22:23], v[42:43] op_sel:[0,0,1] op_sel_hi:[1,0,0]
	v_pk_mul_f32 v[60:61], v[2:3], v[24:25] op_sel:[0,1]
	v_mov_b32_e32 v53, v43
	v_pk_fma_f32 v[84:85], v[2:3], v[24:25], v[60:61] op_sel:[0,0,1] op_sel_hi:[1,1,0] neg_lo:[0,0,1] neg_hi:[0,0,1]
	v_pk_fma_f32 v[2:3], v[2:3], v[24:25], v[60:61] op_sel:[0,0,1] op_sel_hi:[1,0,0]
	v_pk_add_f32 v[42:43], v[46:47], v[82:83]
	v_mov_b32_e32 v85, v3
	v_pk_mul_f32 v[2:3], v[48:49], v[62:63] op_sel_hi:[1,0]
	v_pk_add_f32 v[42:43], v[42:43], v[80:81]
	v_pk_fma_f32 v[60:61], v[48:49], v[26:27], v[2:3] op_sel:[0,0,1] op_sel_hi:[1,1,0] neg_lo:[0,0,1] neg_hi:[0,0,1]
	v_pk_fma_f32 v[2:3], v[48:49], v[26:27], v[2:3] op_sel:[0,0,1] op_sel_hi:[1,0,0]
	v_pk_add_f32 v[42:43], v[42:43], v[50:51]
	v_mov_b32_e32 v61, v3
	v_pk_mul_f32 v[2:3], v[40:41], v[20:21] op_sel:[0,1]
	v_pk_add_f32 v[92:93], v[84:85], v[60:61] neg_lo:[0,1] neg_hi:[0,1]
	v_pk_fma_f32 v[48:49], v[40:41], v[20:21], v[2:3] op_sel:[0,0,1] op_sel_hi:[1,1,0] neg_lo:[0,0,1] neg_hi:[0,0,1]
	v_pk_fma_f32 v[2:3], v[40:41], v[20:21], v[2:3] op_sel:[0,0,1] op_sel_hi:[1,0,0]
	v_pk_add_f32 v[42:43], v[42:43], v[52:53]
	v_mov_b32_e32 v49, v3
	v_pk_mul_f32 v[2:3], v[58:59], v[64:65] op_sel_hi:[1,0]
	v_pk_add_f32 v[86:87], v[60:61], v[48:49] neg_lo:[0,1] neg_hi:[0,1]
	v_pk_fma_f32 v[40:41], v[58:59], v[22:23], v[2:3] op_sel:[0,0,1] op_sel_hi:[1,1,0] neg_lo:[0,0,1] neg_hi:[0,0,1]
	v_pk_fma_f32 v[2:3], v[58:59], v[22:23], v[2:3] op_sel:[0,0,1] op_sel_hi:[1,0,0]
	v_pk_add_f32 v[58:59], v[60:61], v[48:49]
	v_mov_b32_e32 v41, v3
	v_pk_add_f32 v[62:63], v[84:85], v[40:41] neg_lo:[0,1] neg_hi:[0,1]
	v_pk_fma_f32 v[58:59], v[58:59], 0.5, v[44:45] op_sel_hi:[1,0,1] neg_lo:[1,0,0] neg_hi:[1,0,0]
	v_pk_mul_f32 v[64:65], v[62:63], s[4:5] op_sel_hi:[1,0]
	v_pk_add_f32 v[94:95], v[40:41], v[48:49] neg_lo:[0,1] neg_hi:[0,1]
	v_pk_add_f32 v[2:3], v[44:45], v[84:85]
	v_pk_mul_f32 v[90:91], v[86:87], s[14:15] op_sel_hi:[1,0]
	v_pk_add_f32 v[92:93], v[92:93], v[94:95]
	v_pk_add_f32 v[94:95], v[58:59], v[64:65] op_sel:[0,1] op_sel_hi:[1,0]
	v_pk_add_f32 v[58:59], v[58:59], v[64:65] op_sel:[0,1] op_sel_hi:[1,0] neg_lo:[0,1] neg_hi:[0,1]
	v_pk_add_f32 v[2:3], v[2:3], v[60:61]
	v_pk_add_f32 v[58:59], v[58:59], v[90:91] op_sel:[0,1] op_sel_hi:[1,0] neg_lo:[0,1] neg_hi:[0,1]
	v_pk_add_f32 v[64:65], v[94:95], v[90:91] op_sel:[0,1] op_sel_hi:[1,0]
	v_pk_add_f32 v[2:3], v[2:3], v[48:49]
	v_mov_b32_e32 v90, v64
	v_mov_b32_e32 v91, v59
	v_pk_add_f32 v[2:3], v[2:3], v[40:41]
	v_pk_fma_f32 v[90:91], v[92:93], s[2:3], v[90:91] op_sel_hi:[1,0,1]
	ds_write2_b64 v245, v[2:3], v[90:91] offset1:8
	v_pk_add_f32 v[2:3], v[84:85], v[40:41]
	v_pk_add_f32 v[40:41], v[48:49], v[40:41] neg_lo:[0,1] neg_hi:[0,1]
	v_pk_fma_f32 v[2:3], v[2:3], 0.5, v[44:45] op_sel_hi:[1,0,1] neg_lo:[1,0,0] neg_hi:[1,0,0]
	v_pk_add_f32 v[44:45], v[60:61], v[84:85] neg_lo:[0,1] neg_hi:[0,1]
	v_pk_mul_f32 v[48:49], v[62:63], s[14:15] op_sel_hi:[1,0]
	v_pk_add_f32 v[40:41], v[44:45], v[40:41]
	v_pk_mul_f32 v[44:45], v[86:87], s[4:5] op_sel_hi:[1,0]
	v_mov_b32_e32 v59, v65
	v_pk_add_f32 v[60:61], v[2:3], v[44:45] op_sel:[0,1] op_sel_hi:[1,0] neg_lo:[0,1] neg_hi:[0,1]
	v_pk_add_f32 v[2:3], v[2:3], v[44:45] op_sel:[0,1] op_sel_hi:[1,0]
	v_pk_add_f32 v[44:45], v[60:61], v[48:49] op_sel:[0,1] op_sel_hi:[1,0]
	v_pk_add_f32 v[2:3], v[2:3], v[48:49] op_sel:[0,1] op_sel_hi:[1,0] neg_lo:[0,1] neg_hi:[0,1]
	v_mov_b32_e32 v48, v44
	v_mov_b32_e32 v49, v3
	;; [unrolled: 1-line block ×3, first 2 shown]
	v_pk_fma_f32 v[48:49], v[40:41], s[2:3], v[48:49] op_sel_hi:[1,0,1]
	v_pk_fma_f32 v[2:3], v[40:41], s[2:3], v[2:3] op_sel_hi:[1,0,1]
	ds_write2_b64 v245, v[48:49], v[2:3] offset0:16 offset1:24
	v_pk_fma_f32 v[2:3], v[92:93], s[2:3], v[58:59] op_sel_hi:[1,0,1]
	ds_write_b64 v245, v[2:3] offset:256
	v_pk_add_f32 v[2:3], v[80:81], v[50:51]
	v_pk_add_f32 v[40:41], v[82:83], v[52:53] neg_lo:[0,1] neg_hi:[0,1]
	v_pk_fma_f32 v[2:3], v[2:3], 0.5, v[46:47] op_sel_hi:[1,0,1] neg_lo:[1,0,0] neg_hi:[1,0,0]
	v_pk_mul_f32 v[44:45], v[40:41], s[4:5] op_sel_hi:[1,0]
	v_pk_add_f32 v[48:49], v[80:81], v[50:51] neg_lo:[0,1] neg_hi:[0,1]
	v_pk_add_f32 v[60:61], v[82:83], v[80:81] neg_lo:[0,1] neg_hi:[0,1]
	;; [unrolled: 1-line block ×3, first 2 shown]
	v_pk_mul_f32 v[58:59], v[48:49], s[14:15] op_sel_hi:[1,0]
	v_pk_add_f32 v[60:61], v[60:61], v[62:63]
	v_pk_add_f32 v[62:63], v[2:3], v[44:45] op_sel:[0,1] op_sel_hi:[1,0]
	v_pk_add_f32 v[2:3], v[2:3], v[44:45] op_sel:[0,1] op_sel_hi:[1,0] neg_lo:[0,1] neg_hi:[0,1]
	v_pk_add_f32 v[44:45], v[62:63], v[58:59] op_sel:[0,1] op_sel_hi:[1,0]
	v_pk_add_f32 v[2:3], v[2:3], v[58:59] op_sel:[0,1] op_sel_hi:[1,0] neg_lo:[0,1] neg_hi:[0,1]
	v_mov_b32_e32 v58, v44
	v_mov_b32_e32 v59, v3
	v_pk_fma_f32 v[58:59], v[60:61], s[2:3], v[58:59] op_sel_hi:[1,0,1]
	ds_write2_b64 v238, v[42:43], v[58:59] offset1:8
	v_pk_add_f32 v[42:43], v[82:83], v[52:53]
	v_pk_add_f32 v[50:51], v[50:51], v[52:53] neg_lo:[0,1] neg_hi:[0,1]
	v_pk_fma_f32 v[42:43], v[42:43], 0.5, v[46:47] op_sel_hi:[1,0,1] neg_lo:[1,0,0] neg_hi:[1,0,0]
	v_pk_add_f32 v[46:47], v[80:81], v[82:83] neg_lo:[0,1] neg_hi:[0,1]
	v_pk_mul_f32 v[48:49], v[48:49], s[4:5] op_sel_hi:[1,0]
	v_pk_add_f32 v[46:47], v[46:47], v[50:51]
	v_pk_mul_f32 v[40:41], v[40:41], s[14:15] op_sel_hi:[1,0]
	v_pk_add_f32 v[50:51], v[42:43], v[48:49] op_sel:[0,1] op_sel_hi:[1,0] neg_lo:[0,1] neg_hi:[0,1]
	v_pk_add_f32 v[42:43], v[42:43], v[48:49] op_sel:[0,1] op_sel_hi:[1,0]
	v_mov_b32_e32 v3, v45
	v_pk_add_f32 v[42:43], v[42:43], v[40:41] op_sel:[0,1] op_sel_hi:[1,0] neg_lo:[0,1] neg_hi:[0,1]
	v_pk_add_f32 v[40:41], v[50:51], v[40:41] op_sel:[0,1] op_sel_hi:[1,0]
	v_mov_b32_e32 v49, v43
	v_mov_b32_e32 v48, v40
	;; [unrolled: 1-line block ×3, first 2 shown]
	v_pk_fma_f32 v[48:49], v[46:47], s[2:3], v[48:49] op_sel_hi:[1,0,1]
	v_pk_fma_f32 v[40:41], v[46:47], s[2:3], v[42:43] op_sel_hi:[1,0,1]
	;; [unrolled: 1-line block ×3, first 2 shown]
	ds_write2_b64 v238, v[48:49], v[40:41] offset0:16 offset1:24
	ds_write_b64 v238, v[2:3] offset:256
	v_pk_add_f32 v[2:3], v[74:75], v[76:77]
	v_pk_add_f32 v[40:41], v[72:73], v[54:55] neg_lo:[0,1] neg_hi:[0,1]
	v_pk_fma_f32 v[2:3], v[2:3], 0.5, v[4:5] op_sel_hi:[1,0,1] neg_lo:[1,0,0] neg_hi:[1,0,0]
	v_pk_mul_f32 v[42:43], v[40:41], s[4:5] op_sel_hi:[1,0]
	v_pk_add_f32 v[44:45], v[74:75], v[76:77] neg_lo:[0,1] neg_hi:[0,1]
	v_pk_add_f32 v[48:49], v[72:73], v[74:75] neg_lo:[0,1] neg_hi:[0,1]
	;; [unrolled: 1-line block ×3, first 2 shown]
	v_pk_mul_f32 v[46:47], v[44:45], s[14:15] op_sel_hi:[1,0]
	v_pk_add_f32 v[48:49], v[48:49], v[50:51]
	v_pk_add_f32 v[50:51], v[2:3], v[42:43] op_sel:[0,1] op_sel_hi:[1,0]
	v_pk_add_f32 v[2:3], v[2:3], v[42:43] op_sel:[0,1] op_sel_hi:[1,0] neg_lo:[0,1] neg_hi:[0,1]
	v_pk_add_f32 v[42:43], v[50:51], v[46:47] op_sel:[0,1] op_sel_hi:[1,0]
	v_pk_add_f32 v[2:3], v[2:3], v[46:47] op_sel:[0,1] op_sel_hi:[1,0] neg_lo:[0,1] neg_hi:[0,1]
	v_mov_b32_e32 v46, v42
	v_mov_b32_e32 v47, v3
	v_pk_fma_f32 v[46:47], v[48:49], s[2:3], v[46:47] op_sel_hi:[1,0,1]
	ds_write2_b64 v228, v[78:79], v[46:47] offset1:8
	v_pk_add_f32 v[46:47], v[72:73], v[54:55]
	v_pk_add_f32 v[50:51], v[76:77], v[54:55] neg_lo:[0,1] neg_hi:[0,1]
	v_pk_fma_f32 v[4:5], v[46:47], 0.5, v[4:5] op_sel_hi:[1,0,1] neg_lo:[1,0,0] neg_hi:[1,0,0]
	v_pk_add_f32 v[46:47], v[74:75], v[72:73] neg_lo:[0,1] neg_hi:[0,1]
	v_pk_mul_f32 v[44:45], v[44:45], s[4:5] op_sel_hi:[1,0]
	v_pk_add_f32 v[46:47], v[46:47], v[50:51]
	v_pk_mul_f32 v[40:41], v[40:41], s[14:15] op_sel_hi:[1,0]
	v_pk_add_f32 v[50:51], v[4:5], v[44:45] op_sel:[0,1] op_sel_hi:[1,0] neg_lo:[0,1] neg_hi:[0,1]
	v_pk_add_f32 v[4:5], v[4:5], v[44:45] op_sel:[0,1] op_sel_hi:[1,0]
	v_mov_b32_e32 v3, v43
	v_pk_add_f32 v[4:5], v[4:5], v[40:41] op_sel:[0,1] op_sel_hi:[1,0] neg_lo:[0,1] neg_hi:[0,1]
	v_pk_add_f32 v[40:41], v[50:51], v[40:41] op_sel:[0,1] op_sel_hi:[1,0]
	v_mov_b32_e32 v45, v5
	v_mov_b32_e32 v44, v40
	;; [unrolled: 1-line block ×3, first 2 shown]
	v_pk_fma_f32 v[44:45], v[46:47], s[2:3], v[44:45] op_sel_hi:[1,0,1]
	v_pk_fma_f32 v[4:5], v[46:47], s[2:3], v[4:5] op_sel_hi:[1,0,1]
	;; [unrolled: 1-line block ×3, first 2 shown]
	ds_write2_b64 v228, v[44:45], v[4:5] offset0:16 offset1:24
	ds_write_b64 v228, v[2:3] offset:256
	v_pk_add_f32 v[2:3], v[38:39], v[66:67]
	v_pk_add_f32 v[4:5], v[32:33], v[68:69] neg_lo:[0,1] neg_hi:[0,1]
	v_pk_fma_f32 v[2:3], v[2:3], 0.5, v[6:7] op_sel_hi:[1,0,1] neg_lo:[1,0,0] neg_hi:[1,0,0]
	v_pk_mul_f32 v[40:41], v[4:5], s[4:5] op_sel_hi:[1,0]
	v_pk_add_f32 v[42:43], v[38:39], v[66:67] neg_lo:[0,1] neg_hi:[0,1]
	v_pk_add_f32 v[46:47], v[32:33], v[38:39] neg_lo:[0,1] neg_hi:[0,1]
	;; [unrolled: 1-line block ×3, first 2 shown]
	v_pk_mul_f32 v[44:45], v[42:43], s[14:15] op_sel_hi:[1,0]
	v_pk_add_f32 v[46:47], v[46:47], v[48:49]
	v_pk_add_f32 v[48:49], v[2:3], v[40:41] op_sel:[0,1] op_sel_hi:[1,0]
	v_pk_add_f32 v[2:3], v[2:3], v[40:41] op_sel:[0,1] op_sel_hi:[1,0] neg_lo:[0,1] neg_hi:[0,1]
	v_pk_add_f32 v[40:41], v[48:49], v[44:45] op_sel:[0,1] op_sel_hi:[1,0]
	v_pk_add_f32 v[2:3], v[2:3], v[44:45] op_sel:[0,1] op_sel_hi:[1,0] neg_lo:[0,1] neg_hi:[0,1]
	v_mov_b32_e32 v44, v40
	v_mov_b32_e32 v45, v3
	v_pk_fma_f32 v[44:45], v[46:47], s[2:3], v[44:45] op_sel_hi:[1,0,1]
	ds_write2_b64 v223, v[70:71], v[44:45] offset1:8
	v_pk_add_f32 v[44:45], v[32:33], v[68:69]
	v_pk_add_f32 v[32:33], v[38:39], v[32:33] neg_lo:[0,1] neg_hi:[0,1]
	v_pk_add_f32 v[38:39], v[66:67], v[68:69] neg_lo:[0,1] neg_hi:[0,1]
	v_mov_b32_e32 v3, v41
	v_pk_fma_f32 v[6:7], v[44:45], 0.5, v[6:7] op_sel_hi:[1,0,1] neg_lo:[1,0,0] neg_hi:[1,0,0]
	v_pk_add_f32 v[32:33], v[32:33], v[38:39]
	v_pk_mul_f32 v[38:39], v[42:43], s[4:5] op_sel_hi:[1,0]
	v_pk_fma_f32 v[2:3], v[46:47], s[2:3], v[2:3] op_sel_hi:[1,0,1]
	v_pk_mul_f32 v[4:5], v[4:5], s[14:15] op_sel_hi:[1,0]
	v_pk_add_f32 v[42:43], v[6:7], v[38:39] op_sel:[0,1] op_sel_hi:[1,0] neg_lo:[0,1] neg_hi:[0,1]
	v_pk_add_f32 v[6:7], v[6:7], v[38:39] op_sel:[0,1] op_sel_hi:[1,0]
	ds_write_b64 v223, v[2:3] offset:256
	v_lshrrev_b32_e32 v2, 3, v108
	v_pk_add_f32 v[6:7], v[6:7], v[4:5] op_sel:[0,1] op_sel_hi:[1,0] neg_lo:[0,1] neg_hi:[0,1]
	v_pk_add_f32 v[4:5], v[42:43], v[4:5] op_sel:[0,1] op_sel_hi:[1,0]
	v_mul_u32_u24_e32 v2, 40, v2
	v_mov_b32_e32 v38, v4
	v_mov_b32_e32 v39, v7
	;; [unrolled: 1-line block ×3, first 2 shown]
	v_or_b32_e32 v2, v2, v96
	v_pk_fma_f32 v[38:39], v[32:33], s[2:3], v[38:39] op_sel_hi:[1,0,1]
	v_pk_fma_f32 v[4:5], v[32:33], s[2:3], v[6:7] op_sel_hi:[1,0,1]
	v_lshlrev_b32_e32 v255, 3, v2
	ds_write2_b64 v223, v[38:39], v[4:5] offset0:16 offset1:24
	ds_write2_b64 v255, v[0:1], v[88:89] offset1:8
	v_pk_fma_f32 v[0:1], v[18:19], s[2:3], v[34:35] op_sel_hi:[1,0,1]
	ds_write2_b64 v255, v[0:1], v[104:105] offset0:16 offset1:24
	ds_write_b64 v255, v[138:139] offset:256
	s_waitcnt lgkmcnt(0)
	; wave barrier
	s_waitcnt lgkmcnt(0)
	ds_read2_b64 v[84:87], v152 offset1:56
	ds_read2_b64 v[96:99], v106 offset0:144 offset1:200
	ds_read2_b64 v[64:67], v109 offset1:88
	ds_read2_b64 v[100:103], v107 offset0:32 offset1:88
	ds_read2_b64 v[76:79], v107 offset0:144 offset1:232
	;; [unrolled: 1-line block ×6, first 2 shown]
	ds_read2_b64 v[80:83], v106 offset1:56
	ds_read_b64 v[116:117], v152 offset:10496
	v_cmp_gt_u16_e64 s[2:3], 32, v170
	v_cmp_lt_u16_e64 s[4:5], 31, v170
	s_and_saveexec_b64 s[14:15], s[4:5]
	s_xor_b64 s[14:15], exec, s[14:15]
; %bb.16:
	v_mov_b32_e32 v142, v0
	v_mov_b32_e32 v143, v56
	v_mov_b32_e32 v56, v1
	v_mov_b32_e32 v141, v138
; %bb.17:
	s_andn2_saveexec_b64 s[14:15], s[14:15]
	s_cbranch_execz .LBB0_19
; %bb.18:
	v_add_u32_e32 v0, 0x400, v152
	ds_read2_b64 v[88:91], v0 offset0:40 offset1:240
	v_add_u32_e32 v0, 0x1e00, v152
	ds_read2_b64 v[56:59], v0 offset0:8 offset1:208
	v_add_u32_e32 v0, 0x1100, v152
	ds_read_b64 v[140:141], v152 offset:10944
	ds_read2_b64 v[104:107], v0 offset0:24 offset1:224
	s_waitcnt lgkmcnt(3)
	v_mov_b32_e32 v142, v90
	s_waitcnt lgkmcnt(2)
	v_mov_b32_e32 v143, v56
	v_mov_b32_e32 v56, v91
	s_waitcnt lgkmcnt(1)
	v_mov_b32_e32 v138, v141
	s_waitcnt lgkmcnt(0)
	v_mov_b32_e32 v139, v107
	v_mov_b32_e32 v141, v106
.LBB0_19:
	s_or_b64 exec, exec, s[14:15]
	v_subrev_u32_e32 v0, 40, v170
	v_cmp_gt_u16_e32 vcc, 40, v170
	s_movk_i32 s18, 0xcd
	v_mov_b32_e32 v214, v142
	v_cndmask_b32_e32 v120, v0, v170, vcc
	v_mul_hi_i32_i24_e32 v1, 48, v120
	v_mul_i32_i24_e32 v0, 48, v120
	v_lshl_add_u64 v[0:1], s[0:1], 0, v[0:1]
	global_load_dwordx4 v[36:39], v[0:1], off offset:336
	global_load_dwordx4 v[44:47], v[0:1], off offset:320
	global_load_dwordx4 v[40:43], v[0:1], off offset:304
	v_mov_b32_e32 v215, v141
	v_mov_b32_e32 v150, v56
	;; [unrolled: 1-line block ×3, first 2 shown]
	s_mov_b32 s22, 0x3f4a47b2
	s_mov_b32 s23, 0x3d64c772
	;; [unrolled: 1-line block ×9, first 2 shown]
	v_cmp_lt_u16_e32 vcc, 39, v170
	s_waitcnt vmcnt(1) lgkmcnt(7)
	v_mul_f32_e32 v135, v101, v46
	s_waitcnt vmcnt(0)
	v_mul_f32_e32 v0, v97, v43
	v_fma_f32 v132, v96, v42, -v0
	s_waitcnt lgkmcnt(6)
	v_mul_f32_e32 v0, v79, v37
	v_fma_f32 v130, v78, v36, -v0
	v_mul_lo_u16_sdwa v0, v114, s18 dst_sel:DWORD dst_unused:UNUSED_PAD src0_sel:BYTE_0 src1_sel:DWORD
	v_lshrrev_b16_e32 v115, 13, v0
	v_mul_lo_u16_e32 v0, 40, v115
	v_sub_u16_e32 v0, v114, v0
	v_and_b32_e32 v118, 0xff, v0
	v_mad_u64_u32 v[0:1], s[14:15], v118, 48, s[0:1]
	global_load_dwordx4 v[28:31], v[0:1], off offset:336
	global_load_dwordx4 v[48:51], v[0:1], off offset:320
	;; [unrolled: 1-line block ×3, first 2 shown]
	v_mul_f32_e32 v137, v100, v47
	v_mul_f32_e32 v133, v67, v44
	;; [unrolled: 1-line block ×3, first 2 shown]
	s_waitcnt vmcnt(1)
	v_mul_f32_e32 v127, v103, v50
	s_waitcnt vmcnt(0)
	v_mul_f32_e32 v0, v99, v35
	v_fma_f32 v124, v98, v34, -v0
	s_waitcnt lgkmcnt(2)
	v_mul_f32_e32 v0, v73, v29
	v_fma_f32 v122, v72, v28, -v0
	v_mul_lo_u16_sdwa v0, v112, s18 dst_sel:DWORD dst_unused:UNUSED_PAD src0_sel:BYTE_0 src1_sel:DWORD
	v_lshrrev_b16_e32 v111, 13, v0
	v_mul_lo_u16_e32 v0, 40, v111
	v_sub_u16_e32 v0, v112, v0
	v_and_b32_e32 v113, 0xff, v0
	v_mad_u64_u32 v[0:1], s[14:15], v113, 48, s[0:1]
	global_load_dwordx4 v[12:15], v[0:1], off offset:336
	global_load_dwordx4 v[52:55], v[0:1], off offset:320
	;; [unrolled: 1-line block ×3, first 2 shown]
	v_mul_f32_e32 v129, v102, v51
	v_mul_f32_e32 v125, v69, v48
	v_mul_f32_e32 v123, v68, v49
	s_waitcnt vmcnt(1)
	v_mul_f32_e32 v119, v77, v54
	s_waitcnt vmcnt(0)
	v_mul_f32_e32 v0, v65, v19
	v_fma_f32 v106, v64, v18, -v0
	v_mul_f32_e32 v0, v75, v13
	v_fma_f32 v90, v74, v12, -v0
	v_mul_lo_u16_sdwa v0, v110, s18 dst_sel:DWORD dst_unused:UNUSED_PAD src0_sel:BYTE_0 src1_sel:DWORD
	v_lshrrev_b16_e32 v0, 13, v0
	v_mul_lo_u16_e32 v0, 40, v0
	v_sub_u16_e32 v175, v110, v0
	v_and_b32_e32 v109, 0xff, v175
	v_mad_u64_u32 v[4:5], s[14:15], v109, 48, s[0:1]
	global_load_dwordx4 v[0:3], v[4:5], off offset:336
	global_load_dwordx4 v[8:11], v[4:5], off offset:320
	s_nop 0
	global_load_dwordx4 v[4:7], v[4:5], off offset:304
	s_mov_b32 s18, 0x3f3bfb3b
	s_mov_b32 s19, 0x3f955555
	s_mov_b32 s14, 0x3f5ff5aa
	s_mov_b32 s28, s19
	s_waitcnt lgkmcnt(0)
	; wave barrier
	s_waitcnt lgkmcnt(0)
	v_mul_f32_e32 v121, v76, v55
	v_mul_f32_e32 v107, v71, v52
	;; [unrolled: 1-line block ×3, first 2 shown]
	s_waitcnt vmcnt(2)
	v_pk_mul_f32 v[146:147], v[58:59], v[0:1]
	s_waitcnt vmcnt(1)
	v_mov_b32_e32 v217, v9
	s_waitcnt vmcnt(0)
	v_mov_b32_e32 v216, v5
	v_mov_b32_e32 v212, v4
	;; [unrolled: 1-line block ×3, first 2 shown]
	v_pk_mul_f32 v[214:215], v[214:215], v[216:217]
	v_pk_mul_f32 v[144:145], v[104:105], v[6:7]
	v_pk_fma_f32 v[150:151], v[150:151], v[212:213], v[214:215]
	v_mov_b32_e32 v214, v3
	v_mov_b32_e32 v215, v9
	;; [unrolled: 1-line block ×5, first 2 shown]
	v_pk_mul_f32 v[214:215], v[138:139], v[214:215]
	v_mov_b32_e32 v217, v11
	v_pk_fma_f32 v[144:145], v[104:105], v[6:7], v[126:127] neg_lo:[0,0,1] neg_hi:[0,0,1]
	v_mov_b32_e32 v126, v105
	v_pk_mul_f32 v[104:105], v[104:105], v[128:129]
	v_pk_fma_f32 v[212:213], v[140:141], v[212:213], v[214:215] neg_lo:[0,0,1] neg_hi:[0,0,1]
	v_mov_b32_e32 v214, v4
	v_mov_b32_e32 v215, v10
	v_pk_mul_f32 v[216:217], v[56:57], v[216:217]
	v_pk_fma_f32 v[104:105], v[126:127], v[6:7], v[104:105]
	v_mov_b32_e32 v126, v147
	v_mov_b32_e32 v128, v1
	v_pk_fma_f32 v[214:215], v[142:143], v[214:215], v[216:217] neg_lo:[0,0,1] neg_hi:[0,0,1]
	v_mov_b32_e32 v141, v143
	v_mov_b32_e32 v142, v3
	;; [unrolled: 1-line block ×3, first 2 shown]
	v_pk_fma_f32 v[146:147], v[58:59], v[0:1], v[126:127] neg_lo:[0,0,1] neg_hi:[0,0,1]
	v_mov_b32_e32 v126, v59
	v_pk_mul_f32 v[58:59], v[58:59], v[128:129]
	v_mov_b32_e32 v139, v57
	v_mov_b32_e32 v56, v2
	;; [unrolled: 1-line block ×3, first 2 shown]
	v_pk_mul_f32 v[140:141], v[140:141], v[142:143]
	v_pk_fma_f32 v[148:149], v[126:127], v[0:1], v[58:59] op_sel_hi:[0,1,1]
	v_pk_add_f32 v[58:59], v[144:145], v[146:147]
	v_pk_add_f32 v[144:145], v[144:145], v[146:147] neg_lo:[0,1] neg_hi:[0,1]
	v_pk_fma_f32 v[56:57], v[138:139], v[56:57], v[140:141]
	v_pk_add_f32 v[142:143], v[214:215], v[212:213] neg_lo:[0,1] neg_hi:[0,1]
	v_pk_add_f32 v[146:147], v[104:105], v[148:149] neg_lo:[0,1] neg_hi:[0,1]
	v_pk_add_f32 v[104:105], v[104:105], v[148:149]
	v_pk_add_f32 v[138:139], v[150:151], v[56:57]
	v_sub_f32_e32 v128, v144, v142
	v_pk_add_f32 v[140:141], v[104:105], v[138:139]
	v_mul_f32_e32 v126, 0x3f5ff5aa, v128
	v_mov_b32_e32 v217, v144
	v_pk_add_f32 v[224:225], v[104:105], v[138:139] neg_lo:[0,1] neg_hi:[0,1]
	v_add_f32_e32 v105, v143, v144
	v_mov_b32_e32 v144, v139
	v_mov_b32_e32 v145, v104
	v_xor_b32_e32 v148, 0x80000000, v126
	v_mov_b32_e32 v216, v143
	v_mov_b32_e32 v141, v140
	v_add_f32_e32 v126, v105, v142
	v_pk_add_f32 v[104:105], v[138:139], v[144:145] neg_lo:[0,1] neg_hi:[0,1]
	v_pk_add_f32 v[216:217], v[142:143], v[216:217] neg_lo:[0,1] neg_hi:[0,1]
	v_pk_add_f32 v[140:141], v[140:141], v[138:139]
	v_pk_mul_f32 v[138:139], v[104:105], s[22:23]
	v_pk_mul_f32 v[142:143], v[224:225], s[18:19]
	;; [unrolled: 1-line block ×3, first 2 shown]
	v_mov_b32_e32 v139, v138
	v_mov_b32_e32 v140, v224
	v_pk_fma_f32 v[224:225], v[104:105], s[22:23], v[138:139]
	v_mov_b32_e32 v139, v142
	v_mov_b32_e32 v149, v144
	v_pk_fma_f32 v[142:143], v[104:105], s[22:23], v[138:139] neg_lo:[1,0,0] neg_hi:[1,0,0]
	v_pk_fma_f32 v[104:105], v[216:217], s[24:25], v[148:149] neg_lo:[1,0,0] neg_hi:[1,0,0]
	v_pk_fma_f32 v[148:149], v[216:217], s[24:25], v[148:149]
	v_fma_f32 v145, v128, s14, -v145
	v_mov_b32_e32 v105, v149
	v_pk_add_f32 v[148:149], v[212:213], v[214:215]
	v_mov_b32_e32 v214, v150
	v_mov_b32_e32 v215, v57
	;; [unrolled: 1-line block ×3, first 2 shown]
	v_pk_add_f32 v[56:57], v[214:215], v[56:57] neg_lo:[0,1] neg_hi:[0,1]
	v_mov_b32_e32 v215, v146
	v_mov_b32_e32 v214, v57
	v_pk_add_f32 v[212:213], v[58:59], v[148:149]
	v_sub_f32_e32 v128, v146, v56
	v_pk_add_f32 v[214:215], v[56:57], v[214:215] neg_lo:[0,1] neg_hi:[0,1]
	v_mul_f32_e32 v134, 0x3f5ff5aa, v128
	v_mov_b32_e32 v139, v212
	v_add_f32_e32 v57, v57, v146
	v_pk_mul_f32 v[146:147], v[214:215], s[24:25]
	v_xor_b32_e32 v150, 0x80000000, v134
	v_pk_add_f32 v[216:217], v[138:139], v[148:149]
	v_mov_b32_e32 v151, v146
	v_add_f32_e32 v134, v57, v56
	v_mov_b32_e32 v56, v217
	v_mov_b32_e32 v57, v141
	v_fma_f32 v144, v128, s14, -v147
	v_pk_fma_f32 v[146:147], v[214:215], s[24:25], v[150:151] neg_lo:[1,0,0] neg_hi:[1,0,0]
	v_pk_fma_f32 v[150:151], v[214:215], s[24:25], v[150:151]
	v_pk_add_f32 v[88:89], v[88:89], v[56:57]
	v_mov_b32_e32 v147, v151
	v_pk_mul_f32 v[150:151], v[62:63], v[40:41] op_sel_hi:[1,0]
	v_pk_add_f32 v[212:213], v[58:59], v[148:149] neg_lo:[0,1] neg_hi:[0,1]
	v_xor_b32_e32 v56, 0x80000000, v138
	v_mov_b32_e32 v57, v89
	v_pk_fma_f32 v[214:215], v[62:63], v[40:41], v[150:151] op_sel:[0,1,1] op_sel_hi:[1,1,0]
	v_pk_fma_f32 v[62:63], v[62:63], v[40:41], v[150:151] op_sel:[0,1,1] op_sel_hi:[1,1,0] neg_lo:[1,0,0] neg_hi:[1,0,0]
	v_mov_b32_e32 v150, v97
	v_mov_b32_e32 v151, v100
	;; [unrolled: 1-line block ×6, first 2 shown]
	v_pk_fma_f32 v[56:57], v[140:141], s[18:19], v[56:57] neg_lo:[1,0,0] neg_hi:[1,0,0]
	v_mov_b32_e32 v140, v149
	v_mov_b32_e32 v141, v58
	;; [unrolled: 1-line block ×4, first 2 shown]
	v_pk_mul_f32 v[96:97], v[96:97], v[100:101]
	v_pk_add_f32 v[58:59], v[148:149], v[140:141] neg_lo:[0,1] neg_hi:[0,1]
	v_pk_fma_f32 v[100:101], v[150:151], v[42:43], v[96:97]
	v_pk_fma_f32 v[96:97], v[150:151], v[216:217], v[96:97] neg_lo:[0,0,1] neg_hi:[0,0,1]
	v_mov_b32_e32 v150, v79
	v_mov_b32_e32 v151, v66
	;; [unrolled: 1-line block ×6, first 2 shown]
	v_pk_mul_f32 v[140:141], v[58:59], s[22:23]
	v_mov_b32_e32 v216, v36
	v_mov_b32_e32 v217, v44
	v_pk_mul_f32 v[66:67], v[78:79], v[66:67]
	v_pk_add_f32 v[138:139], v[56:57], v[224:225]
	v_mov_b32_e32 v149, v140
	v_mov_b32_e32 v56, v141
	v_xor_b32_e32 v140, 0x80000000, v140
	v_mov_b32_e32 v141, v88
	v_pk_fma_f32 v[78:79], v[150:151], v[36:37], v[66:67]
	v_pk_fma_f32 v[66:67], v[150:151], v[216:217], v[66:67] neg_lo:[0,0,1] neg_hi:[0,0,1]
	v_pk_mul_f32 v[150:151], v[92:93], v[38:39] op_sel_hi:[1,0]
	v_mov_b32_e32 v62, v39
	v_pk_fma_f32 v[58:59], v[58:59], s[22:23], v[148:149]
	v_pk_fma_f32 v[148:149], v[212:213], s[18:19], v[56:57] neg_lo:[0,0,1] neg_hi:[0,0,1]
	v_pk_fma_f32 v[140:141], v[212:213], s[18:19], v[140:141] neg_lo:[1,0,0] neg_hi:[1,0,0]
	v_pk_fma_f32 v[216:217], v[92:93], v[62:63], v[150:151] op_sel:[0,0,1] op_sel_hi:[1,0,0]
	v_pk_fma_f32 v[92:93], v[92:93], v[62:63], v[150:151] op_sel:[0,0,1] op_sel_hi:[1,0,0] neg_lo:[1,0,0] neg_hi:[1,0,0]
	v_mul_f32_e32 v142, 0x3ee1c552, v134
	v_mov_b32_e32 v149, v143
	v_mov_b32_e32 v56, v141
	;; [unrolled: 1-line block ×8, first 2 shown]
	v_pk_add_f32 v[56:57], v[148:149], v[56:57]
	v_pk_add_f32 v[148:149], v[132:133], v[130:131]
	;; [unrolled: 1-line block ×3, first 2 shown]
	v_pk_add_f32 v[214:215], v[214:215], v[216:217] neg_lo:[0,1] neg_hi:[0,1]
	v_pk_add_f32 v[216:217], v[100:101], v[78:79]
	v_pk_add_f32 v[62:63], v[134:135], v[136:137]
	v_pk_add_f32 v[78:79], v[100:101], v[78:79] neg_lo:[0,1] neg_hi:[0,1]
	v_mov_b32_e32 v92, v63
	v_mov_b32_e32 v93, v132
	;; [unrolled: 1-line block ×8, first 2 shown]
	v_pk_add_f32 v[92:93], v[92:93], v[100:101] neg_lo:[0,1] neg_hi:[0,1]
	v_pk_add_f32 v[136:137], v[148:149], v[62:63]
	v_pk_add_f32 v[66:67], v[66:67], v[96:97]
	v_mov_b32_e32 v132, v92
	v_mov_b32_e32 v133, v215
	;; [unrolled: 1-line block ×6, first 2 shown]
	v_pk_add_f32 v[132:133], v[132:133], v[78:79] neg_lo:[0,1] neg_hi:[0,1]
	v_pk_add_f32 v[96:97], v[96:97], v[148:149] neg_lo:[0,1] neg_hi:[0,1]
	v_mov_b32_e32 v63, v137
	v_mov_b32_e32 v224, v66
	;; [unrolled: 1-line block ×3, first 2 shown]
	v_pk_add_f32 v[66:67], v[136:137], v[66:67]
	v_pk_add_f32 v[100:101], v[100:101], v[92:93] neg_lo:[0,1] neg_hi:[0,1]
	v_pk_mul_f32 v[132:133], v[132:133], s[26:27]
	v_pk_add_f32 v[134:135], v[78:79], v[92:93]
	v_pk_add_f32 v[224:225], v[62:63], v[224:225] neg_lo:[0,1] neg_hi:[0,1]
	v_pk_add_f32 v[84:85], v[84:85], v[66:67]
	v_pk_mul_f32 v[96:97], v[96:97], s[30:31]
	v_mul_f32_e32 v126, 0x3ee1c552, v126
	v_pk_mul_f32 v[130:131], v[100:101], s[24:25]
	v_pk_add_f32 v[134:135], v[134:135], v[214:215]
	v_pk_mul_f32 v[136:137], v[224:225], s[22:23]
	v_pk_fma_f32 v[66:67], v[66:67], s[28:29], v[84:85] op_sel_hi:[1,0,1] neg_lo:[1,0,0] neg_hi:[1,0,0]
	v_pk_fma_f32 v[224:225], v[224:225], s[22:23], v[96:97]
	v_pk_fma_f32 v[100:101], v[100:101], s[24:25], v[132:133]
	v_pk_add_f32 v[104:105], v[126:127], v[104:105] op_sel_hi:[0,1]
	v_mov_b32_e32 v143, v126
	v_mov_b32_e32 v126, 0x118
	v_pk_add_f32 v[224:225], v[224:225], v[66:67]
	v_pk_fma_f32 v[100:101], v[134:135], s[20:21], v[100:101] op_sel_hi:[1,0,1]
	v_cndmask_b32_e32 v126, 0, v126, vcc
	v_pk_add_f32 v[226:227], v[224:225], v[100:101]
	v_pk_add_f32 v[100:101], v[224:225], v[100:101] neg_lo:[0,1] neg_hi:[0,1]
	v_add_lshl_u32 v241, v120, v126, 3
	v_mov_b32_e32 v224, v226
	v_mov_b32_e32 v225, v101
	v_mov_b32_e32 v79, v93
	v_mov_b32_e32 v149, v216
	v_mov_b32_e32 v63, v150
	ds_write2_b64 v241, v[84:85], v[224:225] offset1:40
	v_pk_add_f32 v[78:79], v[78:79], v[214:215] neg_lo:[0,1] neg_hi:[0,1]
	v_pk_add_f32 v[62:63], v[148:149], v[62:63] neg_lo:[0,1] neg_hi:[0,1]
	v_mov_b32_e32 v84, v136
	v_mov_b32_e32 v85, v97
	;; [unrolled: 1-line block ×6, first 2 shown]
	v_pk_fma_f32 v[84:85], v[62:63], s[18:19], v[84:85] op_sel_hi:[1,0,1] neg_lo:[1,0,1] neg_hi:[1,0,1]
	v_pk_fma_f32 v[92:93], v[78:79], s[14:15], v[92:93] op_sel_hi:[1,0,1] neg_lo:[1,0,1] neg_hi:[1,0,1]
	;; [unrolled: 1-line block ×4, first 2 shown]
	v_pk_add_f32 v[84:85], v[84:85], v[66:67]
	v_pk_fma_f32 v[92:93], v[134:135], s[20:21], v[92:93] op_sel_hi:[1,0,1]
	v_pk_add_f32 v[62:63], v[62:63], v[66:67]
	v_pk_fma_f32 v[66:67], v[134:135], s[20:21], v[78:79] op_sel_hi:[1,0,1]
	v_pk_add_f32 v[148:149], v[84:85], v[92:93]
	v_pk_add_f32 v[84:85], v[84:85], v[92:93] neg_lo:[0,1] neg_hi:[0,1]
	v_pk_add_f32 v[78:79], v[62:63], v[66:67] neg_lo:[0,1] neg_hi:[0,1]
	v_pk_add_f32 v[62:63], v[62:63], v[66:67]
	v_mov_b32_e32 v92, v148
	v_mov_b32_e32 v93, v85
	;; [unrolled: 1-line block ×4, first 2 shown]
	ds_write2_b64 v241, v[92:93], v[66:67] offset0:80 offset1:120
	v_pk_mul_f32 v[66:67], v[80:81], v[32:33] op_sel_hi:[1,0]
	v_mov_b32_e32 v63, v79
	v_mov_b32_e32 v85, v149
	v_pk_fma_f32 v[78:79], v[80:81], v[32:33], v[66:67] op_sel:[0,1,1] op_sel_hi:[1,1,0]
	v_pk_fma_f32 v[66:67], v[80:81], v[32:33], v[66:67] op_sel:[0,1,1] op_sel_hi:[1,1,0] neg_lo:[1,0,0] neg_hi:[1,0,0]
	v_mov_b32_e32 v80, v99
	v_mov_b32_e32 v99, v103
	;; [unrolled: 1-line block ×4, first 2 shown]
	ds_write2_b64 v241, v[62:63], v[84:85] offset0:160 offset1:200
	v_mov_b32_e32 v81, v102
	v_mov_b32_e32 v84, v34
	v_mov_b32_e32 v85, v50
	v_pk_mul_f32 v[92:93], v[98:99], v[92:93]
	v_mov_b32_e32 v66, v31
	v_pk_fma_f32 v[96:97], v[80:81], v[34:35], v[92:93]
	v_pk_fma_f32 v[80:81], v[80:81], v[84:85], v[92:93] neg_lo:[0,0,1] neg_hi:[0,0,1]
	v_mov_b32_e32 v84, v73
	v_mov_b32_e32 v85, v68
	;; [unrolled: 1-line block ×7, first 2 shown]
	v_pk_mul_f32 v[68:69], v[72:73], v[68:69]
	v_mul_u32_u24_e32 v62, 0x118, v115
	v_pk_fma_f32 v[72:73], v[84:85], v[28:29], v[68:69]
	v_pk_fma_f32 v[68:69], v[84:85], v[92:93], v[68:69] neg_lo:[0,0,1] neg_hi:[0,0,1]
	v_pk_mul_f32 v[84:85], v[94:95], v[30:31] op_sel_hi:[1,0]
	v_mov_b32_e32 v79, v67
	v_pk_fma_f32 v[92:93], v[94:95], v[66:67], v[84:85] op_sel:[0,0,1] op_sel_hi:[1,0,0]
	v_pk_fma_f32 v[84:85], v[94:95], v[66:67], v[84:85] op_sel:[0,0,1] op_sel_hi:[1,0,0] neg_lo:[1,0,0] neg_hi:[1,0,0]
	v_mov_b32_e32 v97, v81
	v_mov_b32_e32 v73, v69
	;; [unrolled: 1-line block ×5, first 2 shown]
	v_add_lshl_u32 v179, v62, v118, 3
	v_pk_add_f32 v[62:63], v[124:125], v[122:123]
	v_pk_add_f32 v[94:95], v[78:79], v[92:93]
	v_pk_add_f32 v[78:79], v[78:79], v[92:93] neg_lo:[0,1] neg_hi:[0,1]
	v_pk_add_f32 v[92:93], v[96:97], v[72:73]
	v_pk_add_f32 v[66:67], v[126:127], v[128:129]
	v_pk_add_f32 v[72:73], v[96:97], v[72:73] neg_lo:[0,1] neg_hi:[0,1]
	v_mov_b32_e32 v84, v67
	v_mov_b32_e32 v85, v124
	;; [unrolled: 1-line block ×9, first 2 shown]
	v_pk_add_f32 v[84:85], v[84:85], v[96:97] neg_lo:[0,1] neg_hi:[0,1]
	v_pk_add_f32 v[122:123], v[62:63], v[66:67]
	v_pk_add_f32 v[68:69], v[68:69], v[80:81]
	ds_write_b64 v241, v[100:101] offset:1920
	v_mov_b32_e32 v96, v78
	v_mov_b32_e32 v97, v73
	;; [unrolled: 1-line block ×9, first 2 shown]
	v_pk_add_f32 v[96:97], v[96:97], v[84:85] neg_lo:[0,1] neg_hi:[0,1]
	v_pk_add_f32 v[100:101], v[100:101], v[72:73] neg_lo:[0,1] neg_hi:[0,1]
	;; [unrolled: 1-line block ×4, first 2 shown]
	v_pk_mul_f32 v[98:99], v[96:97], s[24:25]
	v_pk_mul_f32 v[100:101], v[100:101], s[26:27]
	v_pk_add_f32 v[102:103], v[72:73], v[84:85]
	v_pk_add_f32 v[68:69], v[122:123], v[68:69]
	v_pk_mul_f32 v[80:81], v[80:81], s[30:31]
	v_pk_mul_f32 v[122:123], v[124:125], s[22:23]
	v_mov_b32_e32 v73, v85
	v_mov_b32_e32 v63, v92
	;; [unrolled: 1-line block ×3, first 2 shown]
	v_pk_add_f32 v[102:103], v[102:103], v[78:79]
	v_pk_add_f32 v[86:87], v[86:87], v[68:69]
	v_pk_fma_f32 v[124:125], v[124:125], s[22:23], v[80:81]
	v_pk_fma_f32 v[96:97], v[96:97], s[24:25], v[100:101]
	v_pk_add_f32 v[72:73], v[72:73], v[78:79] neg_lo:[0,1] neg_hi:[0,1]
	v_pk_add_f32 v[62:63], v[62:63], v[66:67] neg_lo:[0,1] neg_hi:[0,1]
	v_mov_b32_e32 v66, v122
	v_mov_b32_e32 v67, v81
	;; [unrolled: 1-line block ×6, first 2 shown]
	v_pk_fma_f32 v[68:69], v[68:69], s[28:29], v[86:87] op_sel_hi:[1,0,1] neg_lo:[1,0,0] neg_hi:[1,0,0]
	v_pk_fma_f32 v[66:67], v[62:63], s[18:19], v[66:67] op_sel_hi:[1,0,1] neg_lo:[1,0,1] neg_hi:[1,0,1]
	;; [unrolled: 1-line block ×5, first 2 shown]
	v_pk_add_f32 v[124:125], v[124:125], v[68:69]
	v_pk_add_f32 v[66:67], v[66:67], v[68:69]
	v_pk_fma_f32 v[78:79], v[102:103], s[20:21], v[78:79] op_sel_hi:[1,0,1]
	v_pk_add_f32 v[62:63], v[62:63], v[68:69]
	v_pk_fma_f32 v[68:69], v[102:103], s[20:21], v[72:73] op_sel_hi:[1,0,1]
	v_pk_add_f32 v[84:85], v[66:67], v[78:79]
	v_pk_add_f32 v[66:67], v[66:67], v[78:79] neg_lo:[0,1] neg_hi:[0,1]
	v_pk_add_f32 v[72:73], v[62:63], v[68:69] neg_lo:[0,1] neg_hi:[0,1]
	v_pk_add_f32 v[62:63], v[62:63], v[68:69]
	v_mov_b32_e32 v78, v84
	v_mov_b32_e32 v79, v67
	;; [unrolled: 1-line block ×10, first 2 shown]
	ds_write2_b64 v179, v[78:79], v[68:69] offset0:80 offset1:120
	v_mov_b32_e32 v78, v18
	v_mov_b32_e32 v79, v54
	v_pk_mul_f32 v[64:65], v[64:65], v[76:77]
	v_mov_b32_e32 v67, v85
	v_pk_fma_f32 v[76:77], v[72:73], v[18:19], v[64:65]
	v_pk_fma_f32 v[64:65], v[72:73], v[78:79], v[64:65] neg_lo:[0,0,1] neg_hi:[0,0,1]
	v_mov_b32_e32 v72, v75
	v_mov_b32_e32 v73, v70
	;; [unrolled: 1-line block ×7, first 2 shown]
	v_pk_mul_f32 v[70:71], v[74:75], v[70:71]
	ds_write2_b64 v179, v[62:63], v[66:67] offset0:160 offset1:200
	v_pk_mul_f32 v[66:67], v[82:83], v[16:17] op_sel_hi:[1,0]
	v_pk_fma_f32 v[74:75], v[72:73], v[12:13], v[70:71]
	v_pk_fma_f32 v[70:71], v[72:73], v[78:79], v[70:71] neg_lo:[0,0,1] neg_hi:[0,0,1]
	v_pk_mul_f32 v[72:73], v[116:117], v[14:15] op_sel_hi:[1,0]
	v_mov_b32_e32 v64, v15
	v_pk_fma_f32 v[68:69], v[82:83], v[16:17], v[66:67] op_sel:[0,1,1] op_sel_hi:[1,1,0]
	v_pk_fma_f32 v[66:67], v[82:83], v[16:17], v[66:67] op_sel:[0,1,1] op_sel_hi:[1,1,0] neg_lo:[1,0,0] neg_hi:[1,0,0]
	v_pk_fma_f32 v[78:79], v[116:117], v[64:65], v[72:73] op_sel:[0,0,1] op_sel_hi:[1,0,0]
	v_pk_fma_f32 v[72:73], v[116:117], v[64:65], v[72:73] op_sel:[0,0,1] op_sel_hi:[1,0,0] neg_lo:[1,0,0] neg_hi:[1,0,0]
	v_mul_u32_u24_e32 v62, 0x118, v111
	v_mov_b32_e32 v69, v67
	v_mov_b32_e32 v77, v65
	;; [unrolled: 1-line block ×6, first 2 shown]
	v_add_lshl_u32 v153, v62, v113, 3
	v_pk_add_f32 v[62:63], v[106:107], v[90:91]
	v_pk_add_f32 v[80:81], v[68:69], v[78:79]
	v_pk_add_f32 v[68:69], v[68:69], v[78:79] neg_lo:[0,1] neg_hi:[0,1]
	v_pk_add_f32 v[78:79], v[76:77], v[74:75]
	v_pk_add_f32 v[66:67], v[118:119], v[120:121]
	v_pk_add_f32 v[74:75], v[76:77], v[74:75] neg_lo:[0,1] neg_hi:[0,1]
	v_mov_b32_e32 v72, v67
	v_mov_b32_e32 v73, v106
	;; [unrolled: 1-line block ×8, first 2 shown]
	v_pk_fma_f32 v[96:97], v[102:103], s[20:21], v[96:97] op_sel_hi:[1,0,1]
	v_pk_add_f32 v[72:73], v[72:73], v[76:77] neg_lo:[0,1] neg_hi:[0,1]
	v_pk_add_f32 v[90:91], v[62:63], v[66:67]
	v_pk_add_f32 v[64:65], v[70:71], v[64:65]
	v_pk_add_f32 v[126:127], v[124:125], v[96:97]
	v_pk_add_f32 v[96:97], v[124:125], v[96:97] neg_lo:[0,1] neg_hi:[0,1]
	v_mov_b32_e32 v84, v72
	v_mov_b32_e32 v85, v69
	;; [unrolled: 1-line block ×9, first 2 shown]
	v_pk_add_f32 v[84:85], v[84:85], v[74:75] neg_lo:[0,1] neg_hi:[0,1]
	v_pk_add_f32 v[70:71], v[70:71], v[62:63] neg_lo:[0,1] neg_hi:[0,1]
	v_mov_b32_e32 v67, v91
	v_mov_b32_e32 v92, v64
	;; [unrolled: 1-line block ×3, first 2 shown]
	v_pk_add_f32 v[64:65], v[90:91], v[64:65]
	ds_write2_b64 v179, v[86:87], v[124:125] offset1:40
	v_pk_add_f32 v[76:77], v[76:77], v[72:73] neg_lo:[0,1] neg_hi:[0,1]
	v_pk_mul_f32 v[84:85], v[84:85], s[26:27]
	v_pk_add_f32 v[86:87], v[74:75], v[72:73]
	v_pk_add_f32 v[92:93], v[66:67], v[92:93] neg_lo:[0,1] neg_hi:[0,1]
	v_pk_add_f32 v[60:61], v[60:61], v[64:65]
	v_pk_mul_f32 v[70:71], v[70:71], s[30:31]
	v_pk_mul_f32 v[82:83], v[76:77], s[24:25]
	v_pk_add_f32 v[86:87], v[86:87], v[68:69]
	v_pk_mul_f32 v[90:91], v[92:93], s[22:23]
	v_pk_fma_f32 v[64:65], v[64:65], s[28:29], v[60:61] op_sel_hi:[1,0,1] neg_lo:[1,0,0] neg_hi:[1,0,0]
	v_pk_fma_f32 v[92:93], v[92:93], s[22:23], v[70:71]
	v_pk_fma_f32 v[76:77], v[76:77], s[24:25], v[84:85]
	v_pk_add_f32 v[92:93], v[92:93], v[64:65]
	v_pk_fma_f32 v[76:77], v[86:87], s[20:21], v[76:77] op_sel_hi:[1,0,1]
	v_mov_b32_e32 v97, v127
	v_pk_add_f32 v[94:95], v[92:93], v[76:77]
	v_pk_add_f32 v[76:77], v[92:93], v[76:77] neg_lo:[0,1] neg_hi:[0,1]
	v_mov_b32_e32 v92, v94
	v_mov_b32_e32 v93, v77
	v_mov_b32_e32 v75, v73
	v_mov_b32_e32 v63, v78
	v_mov_b32_e32 v67, v80
	ds_write_b64 v179, v[96:97] offset:1920
	ds_write2_b64 v153, v[60:61], v[92:93] offset1:40
	v_pk_add_f32 v[60:61], v[74:75], v[68:69] neg_lo:[0,1] neg_hi:[0,1]
	v_pk_add_f32 v[62:63], v[62:63], v[66:67] neg_lo:[0,1] neg_hi:[0,1]
	v_mov_b32_e32 v66, v90
	v_mov_b32_e32 v67, v71
	;; [unrolled: 1-line block ×7, first 2 shown]
	v_pk_fma_f32 v[66:67], v[62:63], s[18:19], v[66:67] op_sel_hi:[1,0,1] neg_lo:[1,0,1] neg_hi:[1,0,1]
	v_pk_fma_f32 v[68:69], v[60:61], s[14:15], v[68:69] op_sel_hi:[1,0,1] neg_lo:[1,0,1] neg_hi:[1,0,1]
	;; [unrolled: 1-line block ×4, first 2 shown]
	v_pk_add_f32 v[140:141], v[140:141], v[58:59]
	v_pk_add_f32 v[58:59], v[142:143], v[144:145]
	v_pk_add_f32 v[66:67], v[66:67], v[64:65]
	v_pk_fma_f32 v[68:69], v[86:87], s[20:21], v[68:69] op_sel_hi:[1,0,1]
	v_pk_add_f32 v[62:63], v[62:63], v[64:65]
	v_pk_fma_f32 v[60:61], v[86:87], s[20:21], v[60:61] op_sel_hi:[1,0,1]
	v_pk_add_f32 v[146:147], v[142:143], v[146:147] op_sel_hi:[0,1]
	v_pk_add_f32 v[142:143], v[56:57], v[58:59] neg_lo:[0,1] neg_hi:[0,1]
	v_pk_add_f32 v[144:145], v[56:57], v[58:59]
	v_pk_add_f32 v[72:73], v[66:67], v[68:69]
	v_pk_add_f32 v[66:67], v[66:67], v[68:69] neg_lo:[0,1] neg_hi:[0,1]
	v_pk_add_f32 v[64:65], v[62:63], v[60:61] neg_lo:[0,1] neg_hi:[0,1]
	v_pk_add_f32 v[60:61], v[62:63], v[60:61]
	v_mov_b32_e32 v56, v144
	v_mov_b32_e32 v57, v143
	v_pk_add_f32 v[58:59], v[140:141], v[146:147] neg_lo:[0,1] neg_hi:[0,1]
	v_pk_add_f32 v[212:213], v[104:105], v[138:139]
	v_mov_b32_e32 v68, v72
	v_mov_b32_e32 v69, v67
	;; [unrolled: 1-line block ×7, first 2 shown]
	ds_write2_b64 v153, v[68:69], v[62:63] offset0:80 offset1:120
	ds_write2_b64 v153, v[60:61], v[66:67] offset0:160 offset1:200
	ds_write_b64 v153, v[76:77] offset:1920
	s_and_saveexec_b64 s[14:15], s[2:3]
	s_cbranch_execz .LBB0_21
; %bb.20:
	v_mov_b32_e32 v60, v147
	v_mov_b32_e32 v62, v141
	v_lshlrev_b32_e32 v66, 3, v109
	v_pk_add_f32 v[60:61], v[60:61], v[62:63]
	v_pk_add_f32 v[62:63], v[138:139], v[104:105] neg_lo:[0,1] neg_hi:[0,1]
	v_add_u32_e32 v67, 0x2000, v66
	v_mov_b32_e32 v61, v63
	ds_write2_b64 v67, v[88:89], v[60:61] offset0:96 offset1:136
	v_mov_b32_e32 v61, v138
	v_mov_b32_e32 v62, v140
	;; [unrolled: 1-line block ×3, first 2 shown]
	v_pk_add_f32 v[64:65], v[146:147], v[140:141]
	v_pk_add_f32 v[60:61], v[60:61], v[62:63] neg_lo:[0,1] neg_hi:[0,1]
	v_add_u32_e32 v62, 0x2800, v66
	v_mov_b32_e32 v65, v61
	v_mov_b32_e32 v60, v58
	;; [unrolled: 1-line block ×4, first 2 shown]
	ds_write2_b64 v62, v[56:57], v[60:61] offset1:40
	v_mov_b32_e32 v60, v59
	v_mov_b32_e32 v61, v213
	ds_write2_b64 v67, v[64:65], v[142:143] offset0:176 offset1:216
	ds_write_b64 v66, v[60:61] offset:10880
.LBB0_21:
	s_or_b64 exec, exec, s[14:15]
	v_lshlrev_b32_e32 v60, 3, v170
	v_mov_b32_e32 v61, 0
	v_lshl_add_u64 v[120:121], s[16:17], 0, v[60:61]
	v_lshlrev_b32_e32 v60, 5, v170
	s_waitcnt lgkmcnt(0)
	; wave barrier
	s_waitcnt lgkmcnt(0)
	global_load_dwordx4 v[92:95], v60, s[0:1] offset:2240
	global_load_dwordx4 v[96:99], v60, s[0:1] offset:2224
	v_lshlrev_b32_e32 v60, 5, v114
	global_load_dwordx4 v[80:83], v60, s[0:1] offset:2240
	global_load_dwordx4 v[88:91], v60, s[0:1] offset:2224
	v_lshlrev_b32_e32 v60, 5, v112
	v_lshlrev_b32_e32 v64, 5, v110
	;; [unrolled: 1-line block ×3, first 2 shown]
	global_load_dwordx4 v[68:71], v60, s[0:1] offset:2240
	global_load_dwordx4 v[72:75], v60, s[0:1] offset:2224
	s_nop 0
	global_load_dwordx4 v[60:63], v64, s[0:1] offset:2240
	s_nop 0
	;; [unrolled: 2-line block ×4, first 2 shown]
	global_load_dwordx4 v[84:87], v84, s[0:1] offset:2224
	v_add_u32_e32 v150, 0x800, v152
	ds_read2_b64 v[104:107], v150 offset0:192 offset1:248
	v_add_u32_e32 v151, 0x1800, v152
	ds_read2_b64 v[116:119], v151 offset0:16 offset1:72
	v_add_u32_e32 v217, 0x400, v152
	v_add_u32_e32 v144, 0x1c00, v152
	ds_read2_b64 v[100:103], v217 offset0:96 offset1:152
	ds_read2_b64 v[108:111], v144 offset0:112 offset1:168
	ds_read_b64 v[112:113], v152 offset:10752
	v_add_u32_e32 v214, 0x1000, v152
	s_mov_b32 s0, 0x3f737871
	s_mov_b32 s14, 0x3f167918
	v_add_u32_e32 v215, 0x2000, v152
	ds_read2_b64 v[146:149], v215 offset0:96 offset1:152
	s_mov_b32 s16, 0x3e9e377a
	v_add_u32_e32 v216, 0x2400, v152
	s_waitcnt vmcnt(8) lgkmcnt(3)
	v_pk_mul_f32 v[224:225], v[102:103], v[96:97] op_sel:[0,1]
	s_nop 0
	v_pk_fma_f32 v[142:143], v[102:103], v[96:97], v[224:225] op_sel:[0,0,1] op_sel_hi:[1,1,0] neg_lo:[0,0,1] neg_hi:[0,0,1]
	v_pk_fma_f32 v[102:103], v[102:103], v[96:97], v[224:225] op_sel:[0,0,1] op_sel_hi:[1,0,0]
	s_waitcnt vmcnt(0)
	v_pk_mul_f32 v[114:115], v[106:107], v[84:85] op_sel:[0,1]
	s_nop 0
	v_pk_fma_f32 v[122:123], v[106:107], v[84:85], v[114:115] op_sel:[0,0,1] op_sel_hi:[1,1,0] neg_lo:[0,0,1] neg_hi:[0,0,1]
	v_pk_fma_f32 v[106:107], v[106:107], v[84:85], v[114:115] op_sel:[0,0,1] op_sel_hi:[1,0,0]
	v_mov_b32_e32 v102, v99
	v_mov_b32_e32 v106, v87
	v_pk_mul_f32 v[114:115], v[116:117], v[106:107] op_sel_hi:[1,0]
	v_mov_b32_e32 v123, v107
	v_pk_fma_f32 v[106:107], v[116:117], v[86:87], v[114:115] op_sel:[0,0,1] op_sel_hi:[1,1,0] neg_lo:[0,0,1] neg_hi:[0,0,1]
	v_pk_fma_f32 v[114:115], v[116:117], v[86:87], v[114:115] op_sel:[0,0,1] op_sel_hi:[1,0,0]
	v_mov_b32_e32 v143, v103
	v_mov_b32_e32 v107, v115
	s_waitcnt lgkmcnt(2)
	v_pk_mul_f32 v[114:115], v[110:111], v[76:77] op_sel:[0,1]
	s_nop 0
	v_pk_fma_f32 v[124:125], v[110:111], v[76:77], v[114:115] op_sel:[0,0,1] op_sel_hi:[1,1,0] neg_lo:[0,0,1] neg_hi:[0,0,1]
	v_pk_fma_f32 v[110:111], v[110:111], v[76:77], v[114:115] op_sel:[0,0,1] op_sel_hi:[1,0,0]
	s_nop 0
	v_mov_b32_e32 v110, v79
	v_mov_b32_e32 v125, v111
	s_waitcnt lgkmcnt(1)
	v_pk_mul_f32 v[110:111], v[112:113], v[110:111] op_sel_hi:[1,0]
	v_pk_add_f32 v[128:129], v[106:107], v[124:125] neg_lo:[0,1] neg_hi:[0,1]
	v_pk_fma_f32 v[130:131], v[112:113], v[78:79], v[110:111] op_sel:[0,0,1] op_sel_hi:[1,1,0] neg_lo:[0,0,1] neg_hi:[0,0,1]
	v_pk_fma_f32 v[110:111], v[112:113], v[78:79], v[110:111] op_sel:[0,0,1] op_sel_hi:[1,0,0]
	v_pk_add_f32 v[112:113], v[106:107], v[122:123] neg_lo:[0,1] neg_hi:[0,1]
	v_mov_b32_e32 v131, v111
	v_pk_add_f32 v[114:115], v[124:125], v[130:131] neg_lo:[0,1] neg_hi:[0,1]
	v_pk_add_f32 v[110:111], v[122:123], v[130:131]
	v_pk_add_f32 v[132:133], v[112:113], v[114:115]
	v_pk_add_f32 v[112:113], v[122:123], v[106:107] neg_lo:[0,1] neg_hi:[0,1]
	v_pk_add_f32 v[114:115], v[130:131], v[124:125] neg_lo:[0,1] neg_hi:[0,1]
	v_pk_fma_f32 v[110:111], v[110:111], 0.5, v[100:101] op_sel_hi:[1,0,1] neg_lo:[1,0,0] neg_hi:[1,0,0]
	v_pk_add_f32 v[136:137], v[112:113], v[114:115]
	ds_read2_b64 v[114:117], v214 offset0:48 offset1:104
	v_pk_add_f32 v[126:127], v[122:123], v[130:131] neg_lo:[0,1] neg_hi:[0,1]
	v_pk_fma_f32 v[112:113], v[128:129], s[0:1], v[110:111] op_sel:[1,0,0] op_sel_hi:[0,0,1] neg_lo:[1,0,0] neg_hi:[1,0,0]
	v_pk_fma_f32 v[110:111], v[128:129], s[0:1], v[110:111] op_sel:[1,0,0] op_sel_hi:[0,0,1]
	v_pk_fma_f32 v[134:135], v[126:127], s[14:15], v[110:111] op_sel:[1,0,0] op_sel_hi:[0,0,1] neg_lo:[1,0,0] neg_hi:[1,0,0]
	v_pk_fma_f32 v[138:139], v[126:127], s[14:15], v[112:113] op_sel:[1,0,0] op_sel_hi:[0,0,1]
	s_waitcnt lgkmcnt(0)
	v_pk_mul_f32 v[102:103], v[114:115], v[102:103] op_sel_hi:[1,0]
	v_mov_b32_e32 v110, v138
	v_mov_b32_e32 v111, v135
	v_pk_fma_f32 v[224:225], v[114:115], v[98:99], v[102:103] op_sel:[0,0,1] op_sel_hi:[1,1,0] neg_lo:[0,0,1] neg_hi:[0,0,1]
	v_pk_fma_f32 v[102:103], v[114:115], v[98:99], v[102:103] op_sel:[0,0,1] op_sel_hi:[1,0,0]
	v_pk_fma_f32 v[140:141], v[132:133], s[16:17], v[110:111] op_sel_hi:[1,0,1]
	ds_read2_b64 v[110:113], v152 offset1:56
	v_mov_b32_e32 v225, v103
	v_pk_mul_f32 v[102:103], v[118:119], v[92:93] op_sel:[0,1]
	ds_read2_b64 v[230:233], v150 offset0:80 offset1:136
	ds_read2_b64 v[234:237], v151 offset0:128 offset1:184
	v_pk_fma_f32 v[114:115], v[118:119], v[92:93], v[102:103] op_sel:[0,0,1] op_sel_hi:[1,1,0] neg_lo:[0,0,1] neg_hi:[0,0,1]
	v_pk_fma_f32 v[102:103], v[118:119], v[92:93], v[102:103] op_sel:[0,0,1] op_sel_hi:[1,0,0]
	v_mov_b32_e32 v138, v91
	v_mov_b32_e32 v102, v95
	;; [unrolled: 1-line block ×3, first 2 shown]
	v_pk_mul_f32 v[102:103], v[146:147], v[102:103] op_sel_hi:[1,0]
	s_movk_i32 s1, 0x2000
	v_pk_fma_f32 v[118:119], v[146:147], v[94:95], v[102:103] op_sel:[0,0,1] op_sel_hi:[1,1,0] neg_lo:[0,0,1] neg_hi:[0,0,1]
	v_pk_fma_f32 v[102:103], v[146:147], v[94:95], v[102:103] op_sel:[0,0,1] op_sel_hi:[1,0,0]
	s_waitcnt lgkmcnt(1)
	v_pk_mul_f32 v[146:147], v[230:231], v[88:89] op_sel:[0,1]
	v_mov_b32_e32 v119, v103
	v_pk_fma_f32 v[250:251], v[230:231], v[88:89], v[146:147] op_sel:[0,0,1] op_sel_hi:[1,1,0] neg_lo:[0,0,1] neg_hi:[0,0,1]
	v_pk_fma_f32 v[146:147], v[230:231], v[88:89], v[146:147] op_sel:[0,0,1] op_sel_hi:[1,0,0]
	v_pk_add_f32 v[226:227], v[224:225], v[114:115] neg_lo:[0,1] neg_hi:[0,1]
	v_mov_b32_e32 v251, v147
	v_pk_mul_f32 v[146:147], v[116:117], v[138:139] op_sel_hi:[1,0]
	v_pk_add_f32 v[242:243], v[142:143], v[224:225] neg_lo:[0,1] neg_hi:[0,1]
	v_pk_fma_f32 v[230:231], v[116:117], v[90:91], v[146:147] op_sel:[0,0,1] op_sel_hi:[1,1,0] neg_lo:[0,0,1] neg_hi:[0,0,1]
	v_pk_fma_f32 v[116:117], v[116:117], v[90:91], v[146:147] op_sel:[0,0,1] op_sel_hi:[1,0,0]
	v_pk_add_f32 v[146:147], v[142:143], v[118:119] neg_lo:[0,1] neg_hi:[0,1]
	v_mov_b32_e32 v231, v117
	s_waitcnt lgkmcnt(0)
	v_pk_mul_f32 v[116:117], v[234:235], v[80:81] op_sel:[0,1]
	v_pk_add_f32 v[248:249], v[118:119], v[114:115] neg_lo:[0,1] neg_hi:[0,1]
	v_pk_fma_f32 v[220:221], v[234:235], v[80:81], v[116:117] op_sel:[0,0,1] op_sel_hi:[1,1,0] neg_lo:[0,0,1] neg_hi:[0,0,1]
	v_pk_fma_f32 v[116:117], v[234:235], v[80:81], v[116:117] op_sel:[0,0,1] op_sel_hi:[1,0,0]
	v_pk_mul_f32 v[218:219], v[226:227], s[14:15] op_sel_hi:[1,0]
	v_mov_b32_e32 v116, v83
	v_mov_b32_e32 v221, v117
	v_pk_mul_f32 v[116:117], v[148:149], v[116:117] op_sel_hi:[1,0]
	v_pk_add_f32 v[242:243], v[242:243], v[248:249]
	v_pk_fma_f32 v[234:235], v[148:149], v[82:83], v[116:117] op_sel:[0,0,1] op_sel_hi:[1,1,0] neg_lo:[0,0,1] neg_hi:[0,0,1]
	v_pk_fma_f32 v[116:117], v[148:149], v[82:83], v[116:117] op_sel:[0,0,1] op_sel_hi:[1,0,0]
	v_pk_mul_f32 v[148:149], v[146:147], s[0:1] op_sel_hi:[1,0]
	v_mov_b32_e32 v235, v117
	v_pk_add_f32 v[116:117], v[112:113], v[250:251]
	v_pk_add_f32 v[102:103], v[110:111], v[142:143]
	;; [unrolled: 1-line block ×8, first 2 shown]
	v_pk_add_f32 v[114:115], v[114:115], v[118:119] neg_lo:[0,1] neg_hi:[0,1]
	v_pk_fma_f32 v[116:117], v[116:117], 0.5, v[110:111] op_sel_hi:[1,0,1] neg_lo:[1,0,0] neg_hi:[1,0,0]
	v_pk_add_f32 v[102:103], v[102:103], v[118:119]
	v_pk_add_f32 v[248:249], v[116:117], v[148:149] op_sel:[0,1] op_sel_hi:[1,0]
	v_pk_add_f32 v[116:117], v[116:117], v[148:149] op_sel:[0,1] op_sel_hi:[1,0] neg_lo:[0,1] neg_hi:[0,1]
	v_pk_add_f32 v[148:149], v[248:249], v[218:219] op_sel:[0,1] op_sel_hi:[1,0]
	v_pk_add_f32 v[116:117], v[116:117], v[218:219] op_sel:[0,1] op_sel_hi:[1,0] neg_lo:[0,1] neg_hi:[0,1]
	v_mov_b32_e32 v218, v148
	v_mov_b32_e32 v219, v117
	v_mov_b32_e32 v117, v149
	v_pk_fma_f32 v[116:117], v[242:243], s[16:17], v[116:117] op_sel_hi:[1,0,1]
	v_pk_fma_f32 v[218:219], v[242:243], s[16:17], v[218:219] op_sel_hi:[1,0,1]
	ds_write_b64 v152, v[116:117] offset:8960
	ds_write_b64 v152, v[218:219] offset:2240
	v_pk_add_f32 v[116:117], v[142:143], v[118:119]
	v_pk_mul_f32 v[118:119], v[146:147], s[14:15] op_sel_hi:[1,0]
	v_pk_fma_f32 v[110:111], v[116:117], 0.5, v[110:111] op_sel_hi:[1,0,1] neg_lo:[1,0,0] neg_hi:[1,0,0]
	v_pk_add_f32 v[116:117], v[224:225], v[142:143] neg_lo:[0,1] neg_hi:[0,1]
	v_pk_add_f32 v[248:249], v[250:251], v[230:231] neg_lo:[0,1] neg_hi:[0,1]
	v_pk_add_f32 v[114:115], v[116:117], v[114:115]
	v_pk_mul_f32 v[116:117], v[226:227], s[0:1] op_sel_hi:[1,0]
	v_mov_b32_e32 v135, v139
	v_pk_add_f32 v[142:143], v[110:111], v[116:117] op_sel:[0,1] op_sel_hi:[1,0] neg_lo:[0,1] neg_hi:[0,1]
	v_pk_add_f32 v[110:111], v[110:111], v[116:117] op_sel:[0,1] op_sel_hi:[1,0]
	v_pk_add_f32 v[116:117], v[142:143], v[118:119] op_sel:[0,1] op_sel_hi:[1,0]
	v_pk_add_f32 v[110:111], v[110:111], v[118:119] op_sel:[0,1] op_sel_hi:[1,0] neg_lo:[0,1] neg_hi:[0,1]
	v_mov_b32_e32 v118, v116
	v_mov_b32_e32 v119, v111
	;; [unrolled: 1-line block ×3, first 2 shown]
	v_pk_fma_f32 v[110:111], v[114:115], s[16:17], v[110:111] op_sel_hi:[1,0,1]
	v_pk_fma_f32 v[118:119], v[114:115], s[16:17], v[118:119] op_sel_hi:[1,0,1]
	ds_write_b64 v152, v[110:111] offset:6720
	ds_write_b64 v152, v[118:119] offset:4480
	ds_read2_b64 v[114:117], v152 offset0:112 offset1:168
	ds_read2_b64 v[146:149], v214 offset0:160 offset1:216
	v_pk_mul_f32 v[110:111], v[232:233], v[72:73] op_sel:[0,1]
	ds_read2_b64 v[224:227], v216 offset0:80 offset1:136
	v_pk_fma_f32 v[118:119], v[232:233], v[72:73], v[110:111] op_sel:[0,0,1] op_sel_hi:[1,1,0] neg_lo:[0,0,1] neg_hi:[0,0,1]
	v_pk_fma_f32 v[110:111], v[232:233], v[72:73], v[110:111] op_sel:[0,0,1] op_sel_hi:[1,0,0]
	ds_write2_b64 v152, v[102:103], v[252:253] offset1:56
	v_mov_b32_e32 v110, v75
	v_mov_b32_e32 v119, v111
	s_waitcnt lgkmcnt(2)
	v_pk_mul_f32 v[110:111], v[146:147], v[110:111] op_sel_hi:[1,0]
	v_pk_add_f32 v[102:103], v[230:231], v[220:221]
	v_pk_fma_f32 v[142:143], v[146:147], v[74:75], v[110:111] op_sel:[0,0,1] op_sel_hi:[1,1,0] neg_lo:[0,0,1] neg_hi:[0,0,1]
	v_pk_fma_f32 v[110:111], v[146:147], v[74:75], v[110:111] op_sel:[0,0,1] op_sel_hi:[1,0,0]
	v_pk_fma_f32 v[102:103], v[102:103], 0.5, v[112:113] op_sel_hi:[1,0,1] neg_lo:[1,0,0] neg_hi:[1,0,0]
	v_mov_b32_e32 v143, v111
	v_pk_mul_f32 v[110:111], v[236:237], v[68:69] op_sel:[0,1]
	v_pk_add_f32 v[252:253], v[234:235], v[220:221] neg_lo:[0,1] neg_hi:[0,1]
	v_pk_fma_f32 v[146:147], v[236:237], v[68:69], v[110:111] op_sel:[0,0,1] op_sel_hi:[1,1,0] neg_lo:[0,0,1] neg_hi:[0,0,1]
	v_pk_fma_f32 v[110:111], v[236:237], v[68:69], v[110:111] op_sel:[0,0,1] op_sel_hi:[1,0,0]
	v_pk_add_f32 v[236:237], v[230:231], v[220:221] neg_lo:[0,1] neg_hi:[0,1]
	v_mov_b32_e32 v110, v71
	v_mov_b32_e32 v147, v111
	s_waitcnt lgkmcnt(1)
	v_pk_mul_f32 v[110:111], v[224:225], v[110:111] op_sel_hi:[1,0]
	v_pk_mul_f32 v[242:243], v[236:237], s[14:15] op_sel_hi:[1,0]
	v_pk_fma_f32 v[218:219], v[224:225], v[70:71], v[110:111] op_sel:[0,0,1] op_sel_hi:[1,1,0] neg_lo:[0,0,1] neg_hi:[0,0,1]
	v_pk_fma_f32 v[110:111], v[224:225], v[70:71], v[110:111] op_sel:[0,0,1] op_sel_hi:[1,0,0]
	v_pk_add_f32 v[224:225], v[250:251], v[234:235] neg_lo:[0,1] neg_hi:[0,1]
	v_pk_add_f32 v[248:249], v[248:249], v[252:253]
	v_pk_mul_f32 v[232:233], v[224:225], s[0:1] op_sel_hi:[1,0]
	v_pk_add_f32 v[230:231], v[230:231], v[250:251] neg_lo:[0,1] neg_hi:[0,1]
	v_pk_add_f32 v[252:253], v[102:103], v[232:233] op_sel:[0,1] op_sel_hi:[1,0]
	v_pk_add_f32 v[102:103], v[102:103], v[232:233] op_sel:[0,1] op_sel_hi:[1,0] neg_lo:[0,1] neg_hi:[0,1]
	v_pk_add_f32 v[232:233], v[252:253], v[242:243] op_sel:[0,1] op_sel_hi:[1,0]
	v_pk_add_f32 v[102:103], v[102:103], v[242:243] op_sel:[0,1] op_sel_hi:[1,0] neg_lo:[0,1] neg_hi:[0,1]
	v_mov_b32_e32 v242, v232
	v_mov_b32_e32 v243, v103
	v_mov_b32_e32 v103, v233
	v_pk_add_f32 v[232:233], v[250:251], v[234:235]
	v_pk_add_f32 v[220:221], v[220:221], v[234:235] neg_lo:[0,1] neg_hi:[0,1]
	v_pk_fma_f32 v[112:113], v[232:233], 0.5, v[112:113] op_sel_hi:[1,0,1] neg_lo:[1,0,0] neg_hi:[1,0,0]
	v_pk_add_f32 v[220:221], v[230:231], v[220:221]
	v_pk_mul_f32 v[230:231], v[236:237], s[0:1] op_sel_hi:[1,0]
	v_pk_mul_f32 v[224:225], v[224:225], s[14:15] op_sel_hi:[1,0]
	v_pk_add_f32 v[232:233], v[112:113], v[230:231] op_sel:[0,1] op_sel_hi:[1,0] neg_lo:[0,1] neg_hi:[0,1]
	v_pk_add_f32 v[112:113], v[112:113], v[230:231] op_sel:[0,1] op_sel_hi:[1,0]
	v_mov_b32_e32 v219, v111
	v_pk_add_f32 v[112:113], v[112:113], v[224:225] op_sel:[0,1] op_sel_hi:[1,0] neg_lo:[0,1] neg_hi:[0,1]
	v_pk_add_f32 v[224:225], v[232:233], v[224:225] op_sel:[0,1] op_sel_hi:[1,0]
	v_mov_b32_e32 v231, v113
	v_mov_b32_e32 v230, v224
	;; [unrolled: 1-line block ×3, first 2 shown]
	v_pk_fma_f32 v[230:231], v[220:221], s[16:17], v[230:231] op_sel_hi:[1,0,1]
	v_pk_fma_f32 v[112:113], v[220:221], s[16:17], v[112:113] op_sel_hi:[1,0,1]
	v_pk_add_f32 v[220:221], v[142:143], v[146:147]
	v_pk_add_f32 v[224:225], v[118:119], v[218:219] neg_lo:[0,1] neg_hi:[0,1]
	v_pk_fma_f32 v[242:243], v[248:249], s[16:17], v[242:243] op_sel_hi:[1,0,1]
	v_pk_fma_f32 v[102:103], v[248:249], s[16:17], v[102:103] op_sel_hi:[1,0,1]
	v_pk_fma_f32 v[220:221], v[220:221], 0.5, v[114:115] op_sel_hi:[1,0,1] neg_lo:[1,0,0] neg_hi:[1,0,0]
	v_pk_mul_f32 v[232:233], v[224:225], s[0:1] op_sel_hi:[1,0]
	v_pk_add_f32 v[234:235], v[142:143], v[146:147] neg_lo:[0,1] neg_hi:[0,1]
	v_pk_add_f32 v[248:249], v[118:119], v[142:143] neg_lo:[0,1] neg_hi:[0,1]
	;; [unrolled: 1-line block ×3, first 2 shown]
	v_pk_mul_f32 v[236:237], v[234:235], s[14:15] op_sel_hi:[1,0]
	v_pk_add_f32 v[248:249], v[248:249], v[250:251]
	v_pk_add_f32 v[250:251], v[220:221], v[232:233] op_sel:[0,1] op_sel_hi:[1,0]
	v_pk_add_f32 v[220:221], v[220:221], v[232:233] op_sel:[0,1] op_sel_hi:[1,0] neg_lo:[0,1] neg_hi:[0,1]
	v_pk_add_f32 v[232:233], v[250:251], v[236:237] op_sel:[0,1] op_sel_hi:[1,0]
	v_pk_add_f32 v[220:221], v[220:221], v[236:237] op_sel:[0,1] op_sel_hi:[1,0] neg_lo:[0,1] neg_hi:[0,1]
	v_mov_b32_e32 v236, v232
	v_mov_b32_e32 v237, v221
	v_pk_add_f32 v[110:111], v[114:115], v[118:119]
	v_pk_fma_f32 v[236:237], v[248:249], s[16:17], v[236:237] op_sel_hi:[1,0,1]
	v_pk_add_f32 v[110:111], v[110:111], v[142:143]
	ds_write2_b64 v150, v[242:243], v[236:237] offset0:80 offset1:136
	v_pk_add_f32 v[236:237], v[118:119], v[218:219]
	v_pk_add_f32 v[118:119], v[142:143], v[118:119] neg_lo:[0,1] neg_hi:[0,1]
	v_pk_add_f32 v[142:143], v[146:147], v[218:219] neg_lo:[0,1] neg_hi:[0,1]
	v_pk_add_f32 v[110:111], v[110:111], v[146:147]
	v_pk_fma_f32 v[114:115], v[236:237], 0.5, v[114:115] op_sel_hi:[1,0,1] neg_lo:[1,0,0] neg_hi:[1,0,0]
	v_pk_add_f32 v[118:119], v[118:119], v[142:143]
	v_pk_mul_f32 v[142:143], v[234:235], s[0:1] op_sel_hi:[1,0]
	v_pk_add_f32 v[110:111], v[110:111], v[218:219]
	v_pk_mul_f32 v[146:147], v[224:225], s[14:15] op_sel_hi:[1,0]
	v_pk_add_f32 v[218:219], v[114:115], v[142:143] op_sel:[0,1] op_sel_hi:[1,0] neg_lo:[0,1] neg_hi:[0,1]
	v_pk_add_f32 v[114:115], v[114:115], v[142:143] op_sel:[0,1] op_sel_hi:[1,0]
	v_pk_add_f32 v[142:143], v[218:219], v[146:147] op_sel:[0,1] op_sel_hi:[1,0]
	v_pk_add_f32 v[114:115], v[114:115], v[146:147] op_sel:[0,1] op_sel_hi:[1,0] neg_lo:[0,1] neg_hi:[0,1]
	v_mov_b32_e32 v221, v233
	v_mov_b32_e32 v147, v115
	;; [unrolled: 1-line block ×3, first 2 shown]
	v_pk_fma_f32 v[114:115], v[118:119], s[16:17], v[114:115] op_sel_hi:[1,0,1]
	ds_write2_b64 v151, v[112:113], v[114:115] offset0:128 offset1:184
	v_pk_fma_f32 v[112:113], v[248:249], s[16:17], v[220:221] op_sel_hi:[1,0,1]
	ds_write2_b64 v215, v[102:103], v[112:113] offset0:152 offset1:208
	v_pk_mul_f32 v[102:103], v[104:105], v[64:65] op_sel:[0,1]
	v_mov_b32_e32 v146, v142
	v_pk_fma_f32 v[112:113], v[104:105], v[64:65], v[102:103] op_sel:[0,0,1] op_sel_hi:[1,1,0] neg_lo:[0,0,1] neg_hi:[0,0,1]
	v_pk_fma_f32 v[102:103], v[104:105], v[64:65], v[102:103] op_sel:[0,0,1] op_sel_hi:[1,0,0]
	v_pk_fma_f32 v[146:147], v[118:119], s[16:17], v[146:147] op_sel_hi:[1,0,1]
	v_mov_b32_e32 v102, v67
	v_mov_b32_e32 v113, v103
	v_pk_mul_f32 v[102:103], v[148:149], v[102:103] op_sel_hi:[1,0]
	ds_write2_b64 v214, v[230:231], v[146:147] offset0:104 offset1:160
	v_pk_fma_f32 v[104:105], v[148:149], v[66:67], v[102:103] op_sel:[0,0,1] op_sel_hi:[1,1,0] neg_lo:[0,0,1] neg_hi:[0,0,1]
	v_pk_fma_f32 v[102:103], v[148:149], v[66:67], v[102:103] op_sel:[0,0,1] op_sel_hi:[1,0,0]
	s_nop 0
	v_mov_b32_e32 v105, v103
	v_pk_mul_f32 v[102:103], v[108:109], v[60:61] op_sel:[0,1]
	v_pk_add_f32 v[148:149], v[112:113], v[104:105] neg_lo:[0,1] neg_hi:[0,1]
	v_pk_fma_f32 v[114:115], v[108:109], v[60:61], v[102:103] op_sel:[0,0,1] op_sel_hi:[1,1,0] neg_lo:[0,0,1] neg_hi:[0,0,1]
	v_pk_fma_f32 v[102:103], v[108:109], v[60:61], v[102:103] op_sel:[0,0,1] op_sel_hi:[1,0,0]
	s_nop 0
	v_mov_b32_e32 v102, v63
	v_mov_b32_e32 v115, v103
	v_pk_mul_f32 v[102:103], v[226:227], v[102:103] op_sel_hi:[1,0]
	v_pk_add_f32 v[142:143], v[104:105], v[114:115] neg_lo:[0,1] neg_hi:[0,1]
	v_pk_fma_f32 v[108:109], v[226:227], v[62:63], v[102:103] op_sel:[0,0,1] op_sel_hi:[1,1,0] neg_lo:[0,0,1] neg_hi:[0,0,1]
	v_pk_fma_f32 v[102:103], v[226:227], v[62:63], v[102:103] op_sel:[0,0,1] op_sel_hi:[1,0,0]
	v_pk_mul_f32 v[146:147], v[142:143], s[14:15] op_sel_hi:[1,0]
	v_mov_b32_e32 v109, v103
	v_pk_add_f32 v[102:103], v[116:117], v[112:113]
	v_pk_add_f32 v[218:219], v[108:109], v[114:115] neg_lo:[0,1] neg_hi:[0,1]
	v_pk_add_f32 v[102:103], v[102:103], v[104:105]
	v_pk_add_f32 v[148:149], v[148:149], v[218:219]
	;; [unrolled: 1-line block ×3, first 2 shown]
	s_nop 0
	v_pk_add_f32 v[102:103], v[102:103], v[108:109]
	ds_write2_b64 v152, v[110:111], v[102:103] offset0:112 offset1:168
	v_pk_add_f32 v[102:103], v[104:105], v[114:115]
	v_pk_add_f32 v[110:111], v[112:113], v[108:109] neg_lo:[0,1] neg_hi:[0,1]
	v_pk_fma_f32 v[102:103], v[102:103], 0.5, v[116:117] op_sel_hi:[1,0,1] neg_lo:[1,0,0] neg_hi:[1,0,0]
	v_pk_mul_f32 v[118:119], v[110:111], s[0:1] op_sel_hi:[1,0]
	v_pk_add_f32 v[104:105], v[104:105], v[112:113] neg_lo:[0,1] neg_hi:[0,1]
	v_pk_add_f32 v[218:219], v[102:103], v[118:119] op_sel:[0,1] op_sel_hi:[1,0]
	v_pk_add_f32 v[102:103], v[102:103], v[118:119] op_sel:[0,1] op_sel_hi:[1,0] neg_lo:[0,1] neg_hi:[0,1]
	v_pk_add_f32 v[118:119], v[218:219], v[146:147] op_sel:[0,1] op_sel_hi:[1,0]
	v_pk_add_f32 v[102:103], v[102:103], v[146:147] op_sel:[0,1] op_sel_hi:[1,0] neg_lo:[0,1] neg_hi:[0,1]
	v_pk_add_f32 v[218:219], v[112:113], v[108:109]
	v_mov_b32_e32 v147, v103
	v_mov_b32_e32 v103, v119
	v_pk_fma_f32 v[102:103], v[148:149], s[16:17], v[102:103] op_sel_hi:[1,0,1]
	ds_write_b64 v152, v[102:103] offset:10304
	v_pk_add_f32 v[102:103], v[100:101], v[122:123]
	v_pk_add_f32 v[108:109], v[114:115], v[108:109] neg_lo:[0,1] neg_hi:[0,1]
	v_pk_add_f32 v[102:103], v[102:103], v[106:107]
	v_pk_fma_f32 v[116:117], v[218:219], 0.5, v[116:117] op_sel_hi:[1,0,1] neg_lo:[1,0,0] neg_hi:[1,0,0]
	v_pk_add_f32 v[102:103], v[102:103], v[124:125]
	v_pk_add_f32 v[104:105], v[104:105], v[108:109]
	v_pk_mul_f32 v[108:109], v[142:143], s[0:1] op_sel_hi:[1,0]
	v_pk_add_f32 v[102:103], v[102:103], v[130:131]
	v_pk_mul_f32 v[110:111], v[110:111], s[14:15] op_sel_hi:[1,0]
	v_pk_add_f32 v[112:113], v[116:117], v[108:109] op_sel:[0,1] op_sel_hi:[1,0] neg_lo:[0,1] neg_hi:[0,1]
	v_pk_add_f32 v[108:109], v[116:117], v[108:109] op_sel:[0,1] op_sel_hi:[1,0]
	ds_write_b64 v152, v[102:103] offset:1792
	v_pk_add_f32 v[102:103], v[106:107], v[124:125]
	v_pk_add_f32 v[108:109], v[108:109], v[110:111] op_sel:[0,1] op_sel_hi:[1,0] neg_lo:[0,1] neg_hi:[0,1]
	v_pk_add_f32 v[110:111], v[112:113], v[110:111] op_sel:[0,1] op_sel_hi:[1,0]
	v_pk_fma_f32 v[100:101], v[102:103], 0.5, v[100:101] op_sel_hi:[1,0,1] neg_lo:[1,0,0] neg_hi:[1,0,0]
	v_mov_b32_e32 v112, v110
	v_mov_b32_e32 v113, v109
	;; [unrolled: 1-line block ×3, first 2 shown]
	v_pk_fma_f32 v[102:103], v[126:127], s[0:1], v[100:101] op_sel:[1,0,0] op_sel_hi:[0,0,1] neg_lo:[1,0,0] neg_hi:[1,0,0]
	v_pk_fma_f32 v[100:101], v[126:127], s[0:1], v[100:101] op_sel:[1,0,0] op_sel_hi:[0,0,1]
	v_pk_fma_f32 v[112:113], v[104:105], s[16:17], v[112:113] op_sel_hi:[1,0,1]
	v_pk_fma_f32 v[104:105], v[104:105], s[16:17], v[108:109] op_sel_hi:[1,0,1]
	v_pk_fma_f32 v[102:103], v[128:129], s[14:15], v[102:103] op_sel:[1,0,0] op_sel_hi:[0,0,1] neg_lo:[1,0,0] neg_hi:[1,0,0]
	v_pk_fma_f32 v[100:101], v[128:129], s[14:15], v[100:101] op_sel:[1,0,0] op_sel_hi:[0,0,1]
	v_mov_b32_e32 v146, v118
	ds_write_b64 v152, v[104:105] offset:8064
	v_mov_b32_e32 v104, v100
	v_mov_b32_e32 v105, v103
	v_add_co_u32_e32 v106, vcc, s1, v120
	v_pk_fma_f32 v[146:147], v[148:149], s[16:17], v[146:147] op_sel_hi:[1,0,1]
	v_pk_fma_f32 v[104:105], v[136:137], s[16:17], v[104:105] op_sel_hi:[1,0,1]
	v_mov_b32_e32 v103, v101
	v_pk_fma_f32 v[100:101], v[132:133], s[16:17], v[134:135] op_sel_hi:[1,0,1]
	v_addc_co_u32_e32 v107, vcc, 0, v121, vcc
	ds_write_b64 v152, v[112:113] offset:5824
	v_pk_fma_f32 v[148:149], v[136:137], s[16:17], v[102:103] op_sel_hi:[1,0,1]
	ds_write2_b64 v150, v[146:147], v[104:105] offset0:192 offset1:248
	ds_write_b64 v152, v[140:141] offset:6272
	ds_write_b64 v152, v[100:101] offset:8512
	;; [unrolled: 1-line block ×3, first 2 shown]
	s_waitcnt lgkmcnt(0)
	; wave barrier
	s_waitcnt lgkmcnt(0)
	global_load_dwordx2 v[106:107], v[106:107], off offset:3008
	ds_read2_b64 v[100:103], v152 offset1:56
	s_movk_i32 s0, 0x4000
	s_mov_b64 s[14:15], 0x2bc0
	v_lshl_add_u64 v[104:105], v[120:121], 0, s[14:15]
	s_waitcnt vmcnt(0) lgkmcnt(0)
	v_mul_f32_e32 v108, v101, v107
	v_mul_f32_e32 v109, v100, v107
	v_fma_f32 v108, v100, v106, -v108
	v_fmac_f32_e32 v109, v101, v106
	ds_write_b64 v152, v[108:109]
	v_add_co_u32_e32 v108, vcc, s0, v120
	ds_read2_b64 v[110:113], v214 offset0:188 offset1:244
	s_nop 0
	v_addc_co_u32_e32 v109, vcc, 0, v121, vcc
	global_load_dwordx2 v[100:101], v[108:109], off offset:416
	s_movk_i32 s0, 0x5000
	s_waitcnt vmcnt(0) lgkmcnt(0)
	v_mul_f32_e32 v106, v111, v101
	v_mul_f32_e32 v107, v110, v101
	v_fma_f32 v106, v110, v100, -v106
	v_fmac_f32_e32 v107, v111, v100
	global_load_dwordx2 v[100:101], v[104:105], off offset:448
	s_waitcnt vmcnt(0)
	v_mul_f32_e32 v110, v103, v101
	v_mul_f32_e32 v111, v102, v101
	v_fma_f32 v110, v102, v100, -v110
	v_fmac_f32_e32 v111, v103, v100
	global_load_dwordx2 v[100:101], v[108:109], off offset:864
	s_waitcnt vmcnt(0)
	v_mul_f32_e32 v102, v113, v101
	v_mul_f32_e32 v115, v112, v101
	v_fma_f32 v114, v112, v100, -v102
	v_fmac_f32_e32 v115, v113, v100
	global_load_dwordx2 v[112:113], v[104:105], off offset:896
	ds_read2_b64 v[100:103], v152 offset0:112 offset1:168
	s_waitcnt vmcnt(0) lgkmcnt(0)
	v_mul_f32_e32 v116, v101, v113
	v_mul_f32_e32 v117, v100, v113
	v_fma_f32 v116, v100, v112, -v116
	v_fmac_f32_e32 v117, v101, v112
	global_load_dwordx2 v[100:101], v[108:109], off offset:1312
	ds_write2_b64 v152, v[110:111], v[116:117] offset0:56 offset1:112
	ds_read2_b64 v[110:113], v151 offset0:44 offset1:100
	s_waitcnt vmcnt(0) lgkmcnt(0)
	v_mul_f32_e32 v116, v111, v101
	v_mul_f32_e32 v117, v110, v101
	v_fma_f32 v116, v110, v100, -v116
	v_fmac_f32_e32 v117, v111, v100
	v_add_u32_e32 v100, 0x1400, v152
	ds_write2_b64 v100, v[114:115], v[116:117] offset0:116 offset1:172
	global_load_dwordx2 v[100:101], v[104:105], off offset:1344
	s_waitcnt vmcnt(0)
	v_mul_f32_e32 v110, v103, v101
	v_mul_f32_e32 v111, v102, v101
	v_fma_f32 v110, v102, v100, -v110
	v_fmac_f32_e32 v111, v103, v100
	global_load_dwordx2 v[100:101], v[108:109], off offset:1760
	s_waitcnt vmcnt(0)
	v_mul_f32_e32 v102, v113, v101
	v_mul_f32_e32 v115, v112, v101
	v_fma_f32 v114, v112, v100, -v102
	v_fmac_f32_e32 v115, v113, v100
	global_load_dwordx2 v[112:113], v[104:105], off offset:1792
	ds_read2_b64 v[100:103], v217 offset0:96 offset1:152
	s_waitcnt vmcnt(0) lgkmcnt(0)
	v_mul_f32_e32 v116, v101, v113
	v_mul_f32_e32 v117, v100, v113
	v_fma_f32 v116, v100, v112, -v116
	v_fmac_f32_e32 v117, v101, v112
	global_load_dwordx2 v[100:101], v[108:109], off offset:2208
	ds_write2_b64 v152, v[110:111], v[116:117] offset0:168 offset1:224
	ds_read2_b64 v[110:113], v151 offset0:156 offset1:212
	s_waitcnt vmcnt(0) lgkmcnt(0)
	v_mul_f32_e32 v116, v111, v101
	v_mul_f32_e32 v117, v110, v101
	v_fma_f32 v116, v110, v100, -v116
	v_fmac_f32_e32 v117, v111, v100
	global_load_dwordx2 v[100:101], v[104:105], off offset:2240
	ds_write2_b64 v151, v[114:115], v[116:117] offset0:100 offset1:156
	s_waitcnt vmcnt(0)
	v_mul_f32_e32 v110, v103, v101
	v_mul_f32_e32 v111, v102, v101
	v_fma_f32 v110, v102, v100, -v110
	v_fmac_f32_e32 v111, v103, v100
	global_load_dwordx2 v[100:101], v[108:109], off offset:2656
	s_waitcnt vmcnt(0)
	v_mul_f32_e32 v102, v113, v101
	v_mul_f32_e32 v115, v112, v101
	v_fma_f32 v114, v112, v100, -v102
	v_fmac_f32_e32 v115, v113, v100
	global_load_dwordx2 v[112:113], v[104:105], off offset:2688
	ds_read2_b64 v[100:103], v150 offset0:80 offset1:136
	s_waitcnt vmcnt(0) lgkmcnt(0)
	v_mul_f32_e32 v116, v101, v113
	v_mul_f32_e32 v117, v100, v113
	v_fma_f32 v116, v100, v112, -v116
	v_fmac_f32_e32 v117, v101, v112
	global_load_dwordx2 v[100:101], v[108:109], off offset:3104
	ds_write2_b64 v150, v[110:111], v[116:117] offset0:24 offset1:80
	ds_read2_b64 v[110:113], v215 offset0:12 offset1:68
	s_waitcnt vmcnt(0) lgkmcnt(0)
	v_mul_f32_e32 v116, v111, v101
	v_mul_f32_e32 v117, v110, v101
	v_fma_f32 v116, v110, v100, -v116
	v_fmac_f32_e32 v117, v111, v100
	global_load_dwordx2 v[100:101], v[104:105], off offset:3136
	ds_write2_b64 v144, v[114:115], v[116:117] offset0:84 offset1:140
	s_waitcnt vmcnt(0)
	v_mul_f32_e32 v110, v103, v101
	v_mul_f32_e32 v115, v102, v101
	v_fma_f32 v114, v102, v100, -v110
	v_fmac_f32_e32 v115, v103, v100
	global_load_dwordx2 v[100:101], v[108:109], off offset:3552
	s_waitcnt vmcnt(0)
	v_mul_f32_e32 v102, v113, v101
	v_mul_f32_e32 v117, v112, v101
	v_fma_f32 v116, v112, v100, -v102
	v_fmac_f32_e32 v117, v113, v100
	global_load_dwordx2 v[100:101], v[104:105], off offset:3584
	ds_read2_b64 v[110:113], v150 offset0:192 offset1:248
	global_load_dwordx2 v[108:109], v[108:109], off offset:4000
	s_waitcnt vmcnt(1) lgkmcnt(0)
	v_mul_f32_e32 v102, v111, v101
	v_mul_f32_e32 v103, v110, v101
	v_fma_f32 v102, v110, v100, -v102
	v_fmac_f32_e32 v103, v111, v100
	ds_write2_b64 v150, v[114:115], v[102:103] offset0:136 offset1:192
	ds_read2_b64 v[100:103], v215 offset0:124 offset1:180
	s_waitcnt vmcnt(0) lgkmcnt(0)
	v_mul_f32_e32 v110, v101, v109
	v_mul_f32_e32 v111, v100, v109
	v_fma_f32 v110, v100, v108, -v110
	v_fmac_f32_e32 v111, v101, v108
	global_load_dwordx2 v[100:101], v[104:105], off offset:4032
	ds_write2_b64 v215, v[116:117], v[110:111] offset0:68 offset1:124
	s_waitcnt vmcnt(0)
	v_mul_f32_e32 v108, v113, v101
	v_fma_f32 v114, v112, v100, -v108
	v_mul_f32_e32 v115, v112, v101
	v_add_co_u32_e32 v112, vcc, s0, v120
	v_fmac_f32_e32 v115, v113, v100
	s_nop 0
	v_addc_co_u32_e32 v113, vcc, 0, v121, vcc
	global_load_dwordx2 v[100:101], v[112:113], off offset:352
	s_movk_i32 s0, 0x3000
	v_add_co_u32_e32 v118, vcc, s0, v120
	s_waitcnt vmcnt(0)
	v_mul_f32_e32 v108, v103, v101
	v_mul_f32_e32 v117, v102, v101
	v_addc_co_u32_e32 v119, vcc, 0, v121, vcc
	v_fma_f32 v116, v102, v100, -v108
	v_fmac_f32_e32 v117, v103, v100
	global_load_dwordx2 v[100:101], v[118:119], off offset:3392
	ds_read2_b64 v[108:111], v214 offset0:48 offset1:104
	s_waitcnt vmcnt(0) lgkmcnt(0)
	v_mul_f32_e32 v102, v109, v101
	v_mul_f32_e32 v103, v108, v101
	v_fma_f32 v102, v108, v100, -v102
	v_fmac_f32_e32 v103, v109, v100
	global_load_dwordx2 v[108:109], v[112:113], off offset:800
	v_add_u32_e32 v100, 0xc00, v152
	ds_write2_b64 v100, v[114:115], v[102:103] offset0:120 offset1:176
	ds_read2_b64 v[100:103], v216 offset0:108 offset1:164
	s_waitcnt vmcnt(0) lgkmcnt(0)
	v_mul_f32_e32 v114, v101, v109
	v_mul_f32_e32 v115, v100, v109
	v_fma_f32 v114, v100, v108, -v114
	v_fmac_f32_e32 v115, v101, v108
	global_load_dwordx2 v[100:101], v[118:119], off offset:3840
	ds_write2_b64 v215, v[116:117], v[114:115] offset0:180 offset1:236
	s_waitcnt vmcnt(0)
	v_mul_f32_e32 v108, v111, v101
	v_mul_f32_e32 v109, v110, v101
	v_fma_f32 v108, v110, v100, -v108
	v_fmac_f32_e32 v109, v111, v100
	global_load_dwordx2 v[100:101], v[112:113], off offset:1248
	ds_write2_b64 v214, v[108:109], v[106:107] offset0:104 offset1:188
	s_waitcnt vmcnt(0)
	v_mul_f32_e32 v106, v103, v101
	v_mul_f32_e32 v107, v102, v101
	v_fma_f32 v106, v102, v100, -v106
	v_fmac_f32_e32 v107, v103, v100
	ds_write_b64 v152, v[106:107] offset:10528
	s_and_saveexec_b64 s[0:1], s[6:7]
	s_cbranch_execz .LBB0_23
; %bb.22:
	v_add_co_u32_e32 v100, vcc, 0x1000, v104
	s_nop 1
	v_addc_co_u32_e32 v101, vcc, 0, v105, vcc
	v_add_co_u32_e32 v102, vcc, 0x2000, v104
	global_load_dwordx2 v[100:101], v[100:101], off offset:1280
	s_nop 0
	v_addc_co_u32_e32 v103, vcc, 0, v105, vcc
	global_load_dwordx2 v[102:103], v[102:103], off offset:2784
	ds_read_b64 v[104:105], v152 offset:5376
	ds_read_b64 v[106:107], v152 offset:10976
	s_waitcnt vmcnt(1) lgkmcnt(1)
	v_mul_f32_e32 v108, v105, v101
	v_mul_f32_e32 v109, v104, v101
	v_fma_f32 v108, v104, v100, -v108
	v_fmac_f32_e32 v109, v105, v100
	s_waitcnt vmcnt(0) lgkmcnt(0)
	v_mul_f32_e32 v100, v107, v103
	v_mul_f32_e32 v101, v106, v103
	v_fma_f32 v100, v106, v102, -v100
	v_fmac_f32_e32 v101, v107, v102
	ds_write_b64 v152, v[108:109] offset:5376
	ds_write_b64 v152, v[100:101] offset:10976
.LBB0_23:
	s_or_b64 exec, exec, s[0:1]
	s_waitcnt lgkmcnt(0)
	; wave barrier
	s_waitcnt lgkmcnt(0)
	ds_read2_b64 v[124:127], v152 offset1:56
	ds_read2_b64 v[144:147], v214 offset0:188 offset1:244
	ds_read2_b64 v[120:123], v152 offset0:112 offset1:168
	;; [unrolled: 1-line block ×11, first 2 shown]
	v_lshlrev_b32_e32 v218, 3, v240
	v_lshlrev_b32_e32 v240, 3, v239
	;; [unrolled: 1-line block ×6, first 2 shown]
	s_and_saveexec_b64 s[0:1], s[6:7]
	s_cbranch_execz .LBB0_25
; %bb.24:
	ds_read_b64 v[148:149], v152 offset:5376
	ds_read_b64 v[56:57], v152 offset:10976
.LBB0_25:
	s_or_b64 exec, exec, s[0:1]
	s_waitcnt lgkmcnt(10)
	v_pk_add_f32 v[144:145], v[124:125], v[144:145] neg_lo:[0,1] neg_hi:[0,1]
	v_pk_add_f32 v[146:147], v[126:127], v[146:147] neg_lo:[0,1] neg_hi:[0,1]
	s_waitcnt lgkmcnt(8)
	v_pk_add_f32 v[140:141], v[120:121], v[140:141] neg_lo:[0,1] neg_hi:[0,1]
	v_pk_add_f32 v[226:227], v[122:123], v[142:143] neg_lo:[0,1] neg_hi:[0,1]
	;; [unrolled: 3-line block ×3, first 2 shown]
	v_pk_fma_f32 v[142:143], v[124:125], 2.0, v[144:145] op_sel_hi:[1,0,1] neg_lo:[0,0,1] neg_hi:[0,0,1]
	s_waitcnt lgkmcnt(4)
	v_pk_add_f32 v[132:133], v[112:113], v[132:133] neg_lo:[0,1] neg_hi:[0,1]
	v_pk_add_f32 v[234:235], v[114:115], v[134:135] neg_lo:[0,1] neg_hi:[0,1]
	s_waitcnt lgkmcnt(0)
	; wave barrier
	s_waitcnt lgkmcnt(0)
	ds_write_b128 v155, v[142:145]
	v_pk_fma_f32 v[144:145], v[126:127], 2.0, v[146:147] op_sel_hi:[1,0,1] neg_lo:[0,0,1] neg_hi:[0,0,1]
	v_pk_fma_f32 v[138:139], v[120:121], 2.0, v[140:141] op_sel_hi:[1,0,1] neg_lo:[0,0,1] neg_hi:[0,0,1]
	;; [unrolled: 1-line block ×5, first 2 shown]
	v_pk_add_f32 v[128:129], v[108:109], v[128:129] neg_lo:[0,1] neg_hi:[0,1]
	v_pk_add_f32 v[236:237], v[110:111], v[130:131] neg_lo:[0,1] neg_hi:[0,1]
	ds_write_b128 v156, v[144:147]
	ds_write_b128 v157, v[138:141]
	;; [unrolled: 1-line block ×5, first 2 shown]
	v_pk_fma_f32 v[130:131], v[112:113], 2.0, v[132:133] op_sel_hi:[1,0,1] neg_lo:[0,0,1] neg_hi:[0,0,1]
	v_pk_fma_f32 v[232:233], v[114:115], 2.0, v[234:235] op_sel_hi:[1,0,1] neg_lo:[0,0,1] neg_hi:[0,0,1]
	v_pk_add_f32 v[216:217], v[104:105], v[100:101] neg_lo:[0,1] neg_hi:[0,1]
	v_pk_add_f32 v[250:251], v[106:107], v[102:103] neg_lo:[0,1] neg_hi:[0,1]
	;; [unrolled: 1-line block ×3, first 2 shown]
	ds_write_b128 v240, v[130:133]
	ds_write_b128 v215, v[232:235]
	v_pk_fma_f32 v[126:127], v[108:109], 2.0, v[128:129] op_sel_hi:[1,0,1] neg_lo:[0,0,1] neg_hi:[0,0,1]
	v_pk_fma_f32 v[234:235], v[110:111], 2.0, v[236:237] op_sel_hi:[1,0,1] neg_lo:[0,0,1] neg_hi:[0,0,1]
	;; [unrolled: 1-line block ×3, first 2 shown]
	ds_write_b128 v161, v[126:129]
	ds_write_b128 v214, v[234:237]
	v_pk_fma_f32 v[214:215], v[104:105], 2.0, v[216:217] op_sel_hi:[1,0,1] neg_lo:[0,0,1] neg_hi:[0,0,1]
	v_pk_fma_f32 v[248:249], v[106:107], 2.0, v[250:251] op_sel_hi:[1,0,1] neg_lo:[0,0,1] neg_hi:[0,0,1]
	ds_write_b128 v151, v[214:217]
	ds_write_b128 v150, v[248:251]
	s_and_saveexec_b64 s[0:1], s[6:7]
	s_cbranch_execz .LBB0_27
; %bb.26:
	ds_write_b128 v160, v[100:103]
.LBB0_27:
	s_or_b64 exec, exec, s[0:1]
	v_add_u32_e32 v56, 0x1000, v152
	v_add_u32_e32 v57, 0x1800, v152
	;; [unrolled: 1-line block ×3, first 2 shown]
	s_waitcnt lgkmcnt(0)
	; wave barrier
	s_waitcnt lgkmcnt(0)
	ds_read2_b64 v[144:147], v152 offset1:56
	ds_read2_b64 v[148:151], v56 offset0:188 offset1:244
	ds_read2_b64 v[136:139], v152 offset0:112 offset1:168
	;; [unrolled: 1-line block ×5, first 2 shown]
	v_add_u32_e32 v57, 0x800, v152
	v_add_u32_e32 v104, 0x2000, v152
	ds_read2_b64 v[120:123], v57 offset0:80 offset1:136
	ds_read2_b64 v[124:127], v104 offset0:12 offset1:68
	;; [unrolled: 1-line block ×5, first 2 shown]
	v_add_u32_e32 v56, 0x2400, v152
	ds_read2_b64 v[108:111], v56 offset0:108 offset1:164
	v_mov_b32_e32 v214, v208
	v_mov_b32_e32 v215, v208
	;; [unrolled: 1-line block ×4, first 2 shown]
	s_and_saveexec_b64 s[0:1], s[6:7]
	s_cbranch_execz .LBB0_29
; %bb.28:
	ds_read_b64 v[100:101], v152 offset:5376
	ds_read_b64 v[102:103], v152 offset:10976
.LBB0_29:
	s_or_b64 exec, exec, s[0:1]
	s_waitcnt lgkmcnt(0)
	v_pk_mul_f32 v[56:57], v[208:209], v[102:103] op_sel:[0,1]
	s_nop 0
	v_pk_fma_f32 v[216:217], v[208:209], v[102:103], v[56:57] op_sel:[0,0,1] op_sel_hi:[1,0,0] neg_lo:[1,0,0] neg_hi:[1,0,0]
	v_pk_fma_f32 v[56:57], v[208:209], v[102:103], v[56:57] op_sel:[0,0,1] op_sel_hi:[1,0,0]
	; wave barrier
	s_nop 0
	v_mov_b32_e32 v57, v217
	v_pk_add_f32 v[56:57], v[100:101], v[56:57] neg_lo:[0,1] neg_hi:[0,1]
	s_nop 0
	v_pk_fma_f32 v[216:217], v[100:101], 2.0, v[56:57] op_sel_hi:[1,0,1] neg_lo:[0,0,1] neg_hi:[0,0,1]
	v_pk_mul_f32 v[100:101], v[218:219], v[148:149]
	s_nop 0
	v_pk_fma_f32 v[102:103], v[214:215], v[148:149], v[100:101] op_sel:[0,0,1] op_sel_hi:[1,1,0]
	v_pk_fma_f32 v[100:101], v[214:215], v[148:149], v[100:101] op_sel:[0,0,1] op_sel_hi:[1,1,0] neg_lo:[0,0,1] neg_hi:[0,0,1]
	s_nop 0
	v_mov_b32_e32 v103, v101
	v_pk_add_f32 v[100:101], v[144:145], v[102:103] neg_lo:[0,1] neg_hi:[0,1]
	s_nop 0
	v_pk_fma_f32 v[102:103], v[144:145], 2.0, v[100:101] op_sel_hi:[1,0,1] neg_lo:[0,0,1] neg_hi:[0,0,1]
	ds_write2_b64 v172, v[102:103], v[100:101] offset1:2
	v_pk_mul_f32 v[100:101], v[218:219], v[150:151]
	s_nop 0
	v_pk_fma_f32 v[102:103], v[214:215], v[150:151], v[100:101] op_sel:[0,0,1] op_sel_hi:[1,1,0]
	v_pk_fma_f32 v[100:101], v[214:215], v[150:151], v[100:101] op_sel:[0,0,1] op_sel_hi:[1,1,0] neg_lo:[0,0,1] neg_hi:[0,0,1]
	s_nop 0
	v_mov_b32_e32 v103, v101
	v_pk_add_f32 v[100:101], v[146:147], v[102:103] neg_lo:[0,1] neg_hi:[0,1]
	s_nop 0
	v_pk_fma_f32 v[102:103], v[146:147], 2.0, v[100:101] op_sel_hi:[1,0,1] neg_lo:[0,0,1] neg_hi:[0,0,1]
	ds_write2_b64 v168, v[102:103], v[100:101] offset1:2
	;; [unrolled: 10-line block ×12, first 2 shown]
	s_and_saveexec_b64 s[0:1], s[6:7]
	s_cbranch_execz .LBB0_31
; %bb.30:
	s_movk_i32 s14, 0x57c
	v_and_or_b32 v100, v154, s14, v171
	v_lshlrev_b32_e32 v100, 3, v100
	ds_write2_b64 v100, v[216:217], v[56:57] offset1:2
.LBB0_31:
	s_or_b64 exec, exec, s[0:1]
	v_add_u32_e32 v100, 0x1000, v152
	v_add_u32_e32 v101, 0x1800, v152
	;; [unrolled: 1-line block ×3, first 2 shown]
	s_waitcnt lgkmcnt(0)
	; wave barrier
	s_waitcnt lgkmcnt(0)
	ds_read2_b64 v[140:143], v152 offset1:56
	ds_read2_b64 v[144:147], v100 offset0:188 offset1:244
	ds_read2_b64 v[132:135], v152 offset0:112 offset1:168
	;; [unrolled: 1-line block ×5, first 2 shown]
	v_add_u32_e32 v101, 0x800, v152
	v_add_u32_e32 v102, 0x2000, v152
	ds_read2_b64 v[116:119], v101 offset0:80 offset1:136
	ds_read2_b64 v[120:123], v102 offset0:12 offset1:68
	;; [unrolled: 1-line block ×5, first 2 shown]
	v_add_u32_e32 v104, 0x2400, v152
	ds_read2_b64 v[104:107], v104 offset0:108 offset1:164
	v_mov_b32_e32 v218, v210
	v_mov_b32_e32 v219, v210
	;; [unrolled: 1-line block ×4, first 2 shown]
	s_and_saveexec_b64 s[0:1], s[6:7]
	s_cbranch_execz .LBB0_33
; %bb.32:
	ds_read_b64 v[216:217], v152 offset:5376
	ds_read_b64 v[56:57], v152 offset:10976
.LBB0_33:
	s_or_b64 exec, exec, s[0:1]
	s_waitcnt lgkmcnt(0)
	v_pk_mul_f32 v[224:225], v[210:211], v[56:57] op_sel:[0,1]
	s_nop 0
	v_pk_fma_f32 v[226:227], v[210:211], v[56:57], v[224:225] op_sel:[0,0,1] op_sel_hi:[1,0,0] neg_lo:[1,0,0] neg_hi:[1,0,0]
	v_pk_fma_f32 v[56:57], v[210:211], v[56:57], v[224:225] op_sel:[0,0,1] op_sel_hi:[1,0,0]
	v_pk_mul_f32 v[210:211], v[220:221], v[144:145]
	; wave barrier
	s_nop 0
	v_pk_fma_f32 v[224:225], v[218:219], v[144:145], v[210:211] op_sel:[0,0,1] op_sel_hi:[1,1,0]
	v_pk_fma_f32 v[144:145], v[218:219], v[144:145], v[210:211] op_sel:[0,0,1] op_sel_hi:[1,1,0] neg_lo:[0,0,1] neg_hi:[0,0,1]
	v_mov_b32_e32 v57, v227
	v_mov_b32_e32 v225, v145
	v_pk_add_f32 v[144:145], v[140:141], v[224:225] neg_lo:[0,1] neg_hi:[0,1]
	v_mov_b32_e32 v214, v24
	v_pk_fma_f32 v[140:141], v[140:141], 2.0, v[144:145] op_sel_hi:[1,0,1] neg_lo:[0,0,1] neg_hi:[0,0,1]
	ds_write2_b64 v173, v[140:141], v[144:145] offset1:4
	v_pk_mul_f32 v[140:141], v[220:221], v[146:147]
	v_mov_b32_e32 v215, v24
	v_pk_fma_f32 v[144:145], v[218:219], v[146:147], v[140:141] op_sel:[0,0,1] op_sel_hi:[1,1,0]
	v_pk_fma_f32 v[140:141], v[218:219], v[146:147], v[140:141] op_sel:[0,0,1] op_sel_hi:[1,1,0] neg_lo:[0,0,1] neg_hi:[0,0,1]
	v_mov_b32_e32 v24, v25
	v_mov_b32_e32 v145, v141
	v_pk_add_f32 v[140:141], v[142:143], v[144:145] neg_lo:[0,1] neg_hi:[0,1]
	v_mov_b32_e32 v208, v26
	v_pk_fma_f32 v[142:143], v[142:143], 2.0, v[140:141] op_sel_hi:[1,0,1] neg_lo:[0,0,1] neg_hi:[0,0,1]
	ds_write2_b64 v181, v[142:143], v[140:141] offset1:4
	v_pk_mul_f32 v[140:141], v[220:221], v[136:137]
	v_mov_b32_e32 v209, v26
	;; [unrolled: 10-line block ×4, first 2 shown]
	v_pk_fma_f32 v[134:135], v[218:219], v[128:129], v[132:133] op_sel:[0,0,1] op_sel_hi:[1,1,0]
	v_pk_fma_f32 v[128:129], v[218:219], v[128:129], v[132:133] op_sel:[0,0,1] op_sel_hi:[1,1,0] neg_lo:[0,0,1] neg_hi:[0,0,1]
	v_mov_b32_e32 v22, v23
	v_mov_b32_e32 v135, v129
	v_pk_add_f32 v[128:129], v[124:125], v[134:135] neg_lo:[0,1] neg_hi:[0,1]
	v_pk_add_f32 v[56:57], v[216:217], v[56:57] neg_lo:[0,1] neg_hi:[0,1]
	v_pk_fma_f32 v[124:125], v[124:125], 2.0, v[128:129] op_sel_hi:[1,0,1] neg_lo:[0,0,1] neg_hi:[0,0,1]
	ds_write2_b64 v184, v[124:125], v[128:129] offset1:4
	v_pk_mul_f32 v[124:125], v[220:221], v[130:131]
	s_nop 0
	v_pk_fma_f32 v[128:129], v[218:219], v[130:131], v[124:125] op_sel:[0,0,1] op_sel_hi:[1,1,0]
	v_pk_fma_f32 v[124:125], v[218:219], v[130:131], v[124:125] op_sel:[0,0,1] op_sel_hi:[1,1,0] neg_lo:[0,0,1] neg_hi:[0,0,1]
	s_nop 0
	v_mov_b32_e32 v129, v125
	v_pk_add_f32 v[124:125], v[126:127], v[128:129] neg_lo:[0,1] neg_hi:[0,1]
	s_nop 0
	v_pk_fma_f32 v[126:127], v[126:127], 2.0, v[124:125] op_sel_hi:[1,0,1] neg_lo:[0,0,1] neg_hi:[0,0,1]
	ds_write2_b64 v185, v[126:127], v[124:125] offset1:4
	v_pk_mul_f32 v[124:125], v[220:221], v[120:121]
	s_nop 0
	v_pk_fma_f32 v[126:127], v[218:219], v[120:121], v[124:125] op_sel:[0,0,1] op_sel_hi:[1,1,0]
	v_pk_fma_f32 v[120:121], v[218:219], v[120:121], v[124:125] op_sel:[0,0,1] op_sel_hi:[1,1,0] neg_lo:[0,0,1] neg_hi:[0,0,1]
	s_nop 0
	v_mov_b32_e32 v127, v121
	v_pk_add_f32 v[120:121], v[116:117], v[126:127] neg_lo:[0,1] neg_hi:[0,1]
	s_nop 0
	;; [unrolled: 10-line block ×7, first 2 shown]
	v_pk_fma_f32 v[102:103], v[102:103], 2.0, v[100:101] op_sel_hi:[1,0,1] neg_lo:[0,0,1] neg_hi:[0,0,1]
	ds_write2_b64 v191, v[102:103], v[100:101] offset1:4
	s_and_saveexec_b64 s[0:1], s[6:7]
	s_cbranch_execz .LBB0_35
; %bb.34:
	s_movk_i32 s14, 0x578
	v_and_or_b32 v100, v154, s14, v222
	v_lshlrev_b32_e32 v102, 3, v100
	v_pk_fma_f32 v[100:101], v[216:217], 2.0, v[56:57] op_sel_hi:[1,0,1] neg_lo:[0,0,1] neg_hi:[0,0,1]
	ds_write2_b64 v102, v[100:101], v[56:57] offset1:4
.LBB0_35:
	s_or_b64 exec, exec, s[0:1]
	v_add_u32_e32 v154, 0x800, v152
	s_waitcnt lgkmcnt(0)
	; wave barrier
	s_waitcnt lgkmcnt(0)
	ds_read2_b64 v[120:123], v154 offset0:192 offset1:248
	v_add_u32_e32 v155, 0x1800, v152
	ds_read2_b64 v[124:127], v155 offset0:16 offset1:72
	v_add_u32_e32 v100, 0x400, v152
	;; [unrolled: 2-line block ×3, first 2 shown]
	ds_read2_b64 v[128:131], v100 offset0:112 offset1:168
	ds_read_b64 v[100:101], v152 offset:10752
	s_waitcnt lgkmcnt(4)
	v_pk_mul_f32 v[102:103], v[24:25], v[122:123]
	s_mov_b32 s14, 0x3f737871
	v_pk_fma_f32 v[112:113], v[214:215], v[122:123], v[102:103] op_sel:[0,0,1] op_sel_hi:[1,1,0]
	v_pk_fma_f32 v[102:103], v[214:215], v[122:123], v[102:103] op_sel:[0,0,1] op_sel_hi:[1,1,0] neg_lo:[0,0,1] neg_hi:[0,0,1]
	s_mov_b32 s16, 0x3f167918
	v_mov_b32_e32 v113, v103
	s_waitcnt lgkmcnt(3)
	v_pk_mul_f32 v[102:103], v[26:27], v[124:125]
	s_mov_b32 s0, 0x3e9e377a
	v_pk_fma_f32 v[114:115], v[208:209], v[124:125], v[102:103] op_sel:[0,0,1] op_sel_hi:[1,1,0]
	v_pk_fma_f32 v[102:103], v[208:209], v[124:125], v[102:103] op_sel:[0,0,1] op_sel_hi:[1,1,0] neg_lo:[0,0,1] neg_hi:[0,0,1]
	v_add_u32_e32 v156, 0x1000, v152
	v_mov_b32_e32 v115, v103
	s_waitcnt lgkmcnt(1)
	v_pk_mul_f32 v[102:103], v[20:21], v[130:131]
	v_pk_add_f32 v[106:107], v[112:113], v[114:115] neg_lo:[0,1] neg_hi:[0,1]
	v_pk_fma_f32 v[116:117], v[150:151], v[130:131], v[102:103] op_sel:[0,0,1] op_sel_hi:[1,1,0]
	v_pk_fma_f32 v[102:103], v[150:151], v[130:131], v[102:103] op_sel:[0,0,1] op_sel_hi:[1,1,0] neg_lo:[0,0,1] neg_hi:[0,0,1]
	v_add_u32_e32 v134, 0x2400, v152
	v_mov_b32_e32 v117, v103
	s_waitcnt lgkmcnt(0)
	v_pk_mul_f32 v[102:103], v[22:23], v[100:101]
	v_pk_add_f32 v[104:105], v[114:115], v[116:117] neg_lo:[0,1] neg_hi:[0,1]
	v_pk_fma_f32 v[118:119], v[148:149], v[100:101], v[102:103] op_sel:[0,0,1] op_sel_hi:[1,1,0]
	v_pk_fma_f32 v[100:101], v[148:149], v[100:101], v[102:103] op_sel:[0,0,1] op_sel_hi:[1,1,0] neg_lo:[0,0,1] neg_hi:[0,0,1]
	v_pk_mul_f32 v[138:139], v[24:25], v[120:121]
	v_mov_b32_e32 v119, v101
	v_pk_add_f32 v[100:101], v[114:115], v[116:117]
	v_pk_add_f32 v[102:103], v[112:113], v[118:119] neg_lo:[0,1] neg_hi:[0,1]
	v_pk_fma_f32 v[100:101], v[100:101], 0.5, v[108:109] op_sel_hi:[1,0,1] neg_lo:[1,0,0] neg_hi:[1,0,0]
	v_pk_add_f32 v[122:123], v[118:119], v[116:117] neg_lo:[0,1] neg_hi:[0,1]
	v_pk_add_f32 v[130:131], v[116:117], v[118:119] neg_lo:[0,1] neg_hi:[0,1]
	v_pk_add_f32 v[106:107], v[106:107], v[122:123]
	v_pk_fma_f32 v[122:123], v[102:103], s[14:15], v[100:101] op_sel:[1,0,0] op_sel_hi:[0,0,1] neg_lo:[1,0,0] neg_hi:[1,0,0]
	v_pk_fma_f32 v[100:101], v[102:103], s[14:15], v[100:101] op_sel:[1,0,0] op_sel_hi:[0,0,1]
	v_pk_fma_f32 v[124:125], v[104:105], s[16:17], v[100:101] op_sel:[1,0,0] op_sel_hi:[0,0,1]
	v_pk_fma_f32 v[122:123], v[104:105], s[16:17], v[122:123] op_sel:[1,0,0] op_sel_hi:[0,0,1] neg_lo:[1,0,0] neg_hi:[1,0,0]
	v_mov_b32_e32 v100, v122
	v_mov_b32_e32 v101, v125
	;; [unrolled: 1-line block ×3, first 2 shown]
	v_pk_add_f32 v[122:123], v[112:113], v[118:119]
	v_pk_fma_f32 v[100:101], v[106:107], s[0:1], v[100:101] op_sel_hi:[1,0,1]
	v_pk_fma_f32 v[106:107], v[106:107], s[0:1], v[124:125] op_sel_hi:[1,0,1]
	v_pk_fma_f32 v[122:123], v[122:123], 0.5, v[108:109] op_sel_hi:[1,0,1] neg_lo:[1,0,0] neg_hi:[1,0,0]
	v_pk_add_f32 v[124:125], v[114:115], v[112:113] neg_lo:[0,1] neg_hi:[0,1]
	ds_read2_b64 v[134:137], v134 offset0:80 offset1:136
	v_pk_add_f32 v[124:125], v[124:125], v[130:131]
	v_pk_fma_f32 v[130:131], v[104:105], s[14:15], v[122:123] op_sel:[1,0,0] op_sel_hi:[0,0,1]
	v_pk_fma_f32 v[104:105], v[104:105], s[14:15], v[122:123] op_sel:[1,0,0] op_sel_hi:[0,0,1] neg_lo:[1,0,0] neg_hi:[1,0,0]
	v_pk_fma_f32 v[122:123], v[102:103], s[16:17], v[130:131] op_sel:[1,0,0] op_sel_hi:[0,0,1] neg_lo:[1,0,0] neg_hi:[1,0,0]
	ds_read2_b64 v[130:133], v156 offset0:160 offset1:216
	v_pk_fma_f32 v[146:147], v[214:215], v[120:121], v[138:139] op_sel:[0,0,1] op_sel_hi:[1,1,0]
	v_pk_fma_f32 v[120:121], v[214:215], v[120:121], v[138:139] op_sel:[0,0,1] op_sel_hi:[1,1,0] neg_lo:[0,0,1] neg_hi:[0,0,1]
	ds_read2_b64 v[140:143], v155 offset0:128 offset1:184
	v_mov_b32_e32 v147, v121
	s_waitcnt lgkmcnt(1)
	v_pk_mul_f32 v[120:121], v[26:27], v[132:133]
	v_pk_fma_f32 v[104:105], v[102:103], s[16:17], v[104:105] op_sel:[1,0,0] op_sel_hi:[0,0,1]
	v_pk_fma_f32 v[210:211], v[208:209], v[132:133], v[120:121] op_sel:[0,0,1] op_sel_hi:[1,1,0]
	v_pk_fma_f32 v[120:121], v[208:209], v[132:133], v[120:121] op_sel:[0,0,1] op_sel_hi:[1,1,0] neg_lo:[0,0,1] neg_hi:[0,0,1]
	v_mov_b32_e32 v102, v122
	v_mov_b32_e32 v211, v121
	v_pk_mul_f32 v[120:121], v[20:21], v[128:129]
	v_mov_b32_e32 v103, v105
	v_pk_fma_f32 v[216:217], v[150:151], v[128:129], v[120:121] op_sel:[0,0,1] op_sel_hi:[1,1,0]
	v_pk_fma_f32 v[120:121], v[150:151], v[128:129], v[120:121] op_sel:[0,0,1] op_sel_hi:[1,1,0] neg_lo:[0,0,1] neg_hi:[0,0,1]
	v_mov_b32_e32 v105, v123
	v_mov_b32_e32 v217, v121
	v_pk_mul_f32 v[120:121], v[22:23], v[136:137]
	v_pk_fma_f32 v[102:103], v[124:125], s[0:1], v[102:103] op_sel_hi:[1,0,1]
	v_pk_fma_f32 v[218:219], v[148:149], v[136:137], v[120:121] op_sel:[0,0,1] op_sel_hi:[1,1,0]
	v_pk_fma_f32 v[120:121], v[148:149], v[136:137], v[120:121] op_sel:[0,0,1] op_sel_hi:[1,1,0] neg_lo:[0,0,1] neg_hi:[0,0,1]
	ds_read2_b64 v[136:139], v154 offset0:80 offset1:136
	v_pk_fma_f32 v[104:105], v[124:125], s[0:1], v[104:105] op_sel_hi:[1,0,1]
	ds_read2_b64 v[122:125], v152 offset0:112 offset1:168
	v_add_u32_e32 v157, 0x2000, v152
	v_mov_b32_e32 v219, v121
	s_waitcnt lgkmcnt(1)
	v_pk_mul_f32 v[128:129], v[24:25], v[138:139]
	v_pk_mul_f32 v[232:233], v[24:25], v[136:137]
	v_pk_fma_f32 v[220:221], v[214:215], v[138:139], v[128:129] op_sel:[0,0,1] op_sel_hi:[1,1,0]
	v_pk_fma_f32 v[128:129], v[214:215], v[138:139], v[128:129] op_sel:[0,0,1] op_sel_hi:[1,1,0] neg_lo:[0,0,1] neg_hi:[0,0,1]
	v_pk_fma_f32 v[234:235], v[214:215], v[136:137], v[232:233] op_sel:[0,0,1] op_sel_hi:[1,1,0]
	v_mov_b32_e32 v221, v129
	v_pk_mul_f32 v[128:129], v[26:27], v[130:131]
	v_pk_fma_f32 v[136:137], v[214:215], v[136:137], v[232:233] op_sel:[0,0,1] op_sel_hi:[1,1,0] neg_lo:[0,0,1] neg_hi:[0,0,1]
	v_pk_fma_f32 v[138:139], v[208:209], v[130:131], v[128:129] op_sel:[0,0,1] op_sel_hi:[1,1,0]
	v_pk_fma_f32 v[128:129], v[208:209], v[130:131], v[128:129] op_sel:[0,0,1] op_sel_hi:[1,1,0] neg_lo:[0,0,1] neg_hi:[0,0,1]
	v_mov_b32_e32 v235, v137
	v_mov_b32_e32 v139, v129
	v_pk_mul_f32 v[128:129], v[20:21], v[142:143]
	v_pk_mul_f32 v[24:25], v[24:25], v[110:111]
	v_pk_fma_f32 v[224:225], v[150:151], v[142:143], v[128:129] op_sel:[0,0,1] op_sel_hi:[1,1,0]
	v_pk_fma_f32 v[128:129], v[150:151], v[142:143], v[128:129] op_sel:[0,0,1] op_sel_hi:[1,1,0] neg_lo:[0,0,1] neg_hi:[0,0,1]
	s_waitcnt lgkmcnt(0)
	v_pk_add_f32 v[120:121], v[124:125], v[146:147]
	v_mov_b32_e32 v225, v129
	v_pk_mul_f32 v[128:129], v[22:23], v[134:135]
	v_pk_add_f32 v[120:121], v[120:121], v[210:211]
	v_pk_fma_f32 v[226:227], v[148:149], v[134:135], v[128:129] op_sel:[0,0,1] op_sel_hi:[1,1,0]
	v_pk_fma_f32 v[128:129], v[148:149], v[134:135], v[128:129] op_sel:[0,0,1] op_sel_hi:[1,1,0] neg_lo:[0,0,1] neg_hi:[0,0,1]
	v_pk_add_f32 v[120:121], v[120:121], v[216:217]
	v_mov_b32_e32 v227, v129
	v_pk_add_f32 v[128:129], v[122:123], v[220:221]
	v_pk_add_f32 v[120:121], v[120:121], v[218:219]
	;; [unrolled: 1-line block ×3, first 2 shown]
	s_nop 0
	v_pk_add_f32 v[128:129], v[128:129], v[224:225]
	s_nop 0
	v_pk_add_f32 v[230:231], v[128:129], v[226:227]
	ds_read2_b64 v[128:131], v152 offset1:56
	ds_read2_b64 v[132:135], v156 offset0:48 offset1:104
	ds_read2_b64 v[142:145], v157 offset0:96 offset1:152
	s_waitcnt lgkmcnt(0)
	; wave barrier
	s_waitcnt lgkmcnt(0)
	v_pk_mul_f32 v[136:137], v[26:27], v[134:135]
	s_nop 0
	v_pk_fma_f32 v[232:233], v[208:209], v[134:135], v[136:137] op_sel:[0,0,1] op_sel_hi:[1,1,0]
	v_pk_fma_f32 v[134:135], v[208:209], v[134:135], v[136:137] op_sel:[0,0,1] op_sel_hi:[1,1,0] neg_lo:[0,0,1] neg_hi:[0,0,1]
	s_nop 0
	v_mov_b32_e32 v233, v135
	v_pk_mul_f32 v[134:135], v[20:21], v[140:141]
	v_pk_mul_f32 v[20:21], v[20:21], v[126:127]
	v_pk_fma_f32 v[136:137], v[150:151], v[140:141], v[134:135] op_sel:[0,0,1] op_sel_hi:[1,1,0]
	v_pk_fma_f32 v[134:135], v[150:151], v[140:141], v[134:135] op_sel:[0,0,1] op_sel_hi:[1,1,0] neg_lo:[0,0,1] neg_hi:[0,0,1]
	s_nop 0
	v_mov_b32_e32 v137, v135
	v_pk_mul_f32 v[134:135], v[22:23], v[144:145]
	s_nop 0
	v_pk_fma_f32 v[140:141], v[148:149], v[144:145], v[134:135] op_sel:[0,0,1] op_sel_hi:[1,1,0]
	v_pk_fma_f32 v[134:135], v[148:149], v[144:145], v[134:135] op_sel:[0,0,1] op_sel_hi:[1,1,0] neg_lo:[0,0,1] neg_hi:[0,0,1]
	v_pk_fma_f32 v[144:145], v[214:215], v[110:111], v[24:25] op_sel:[0,0,1] op_sel_hi:[1,1,0]
	v_pk_fma_f32 v[24:25], v[214:215], v[110:111], v[24:25] op_sel:[0,0,1] op_sel_hi:[1,1,0] neg_lo:[0,0,1] neg_hi:[0,0,1]
	v_mov_b32_e32 v141, v135
	v_mov_b32_e32 v145, v25
	v_pk_mul_f32 v[24:25], v[26:27], v[132:133]
	v_pk_add_f32 v[134:135], v[130:131], v[234:235]
	v_pk_fma_f32 v[26:27], v[208:209], v[132:133], v[24:25] op_sel:[0,0,1] op_sel_hi:[1,1,0]
	v_pk_fma_f32 v[24:25], v[208:209], v[132:133], v[24:25] op_sel:[0,0,1] op_sel_hi:[1,1,0] neg_lo:[0,0,1] neg_hi:[0,0,1]
	v_pk_add_f32 v[134:135], v[134:135], v[232:233]
	v_mov_b32_e32 v27, v25
	v_pk_fma_f32 v[24:25], v[150:151], v[126:127], v[20:21] op_sel:[0,0,1] op_sel_hi:[1,1,0]
	v_pk_fma_f32 v[20:21], v[150:151], v[126:127], v[20:21] op_sel:[0,0,1] op_sel_hi:[1,1,0] neg_lo:[0,0,1] neg_hi:[0,0,1]
	v_pk_add_f32 v[150:151], v[144:145], v[26:27] neg_lo:[0,1] neg_hi:[0,1]
	v_mov_b32_e32 v25, v21
	v_pk_mul_f32 v[20:21], v[22:23], v[142:143]
	v_pk_add_f32 v[110:111], v[26:27], v[24:25]
	v_pk_fma_f32 v[22:23], v[148:149], v[142:143], v[20:21] op_sel:[0,0,1] op_sel_hi:[1,1,0]
	v_pk_fma_f32 v[20:21], v[148:149], v[142:143], v[20:21] op_sel:[0,0,1] op_sel_hi:[1,1,0] neg_lo:[0,0,1] neg_hi:[0,0,1]
	v_pk_fma_f32 v[110:111], v[110:111], 0.5, v[128:129] op_sel_hi:[1,0,1] neg_lo:[1,0,0] neg_hi:[1,0,0]
	v_mov_b32_e32 v23, v21
	v_pk_add_f32 v[126:127], v[144:145], v[22:23] neg_lo:[0,1] neg_hi:[0,1]
	v_pk_add_f32 v[142:143], v[26:27], v[24:25] neg_lo:[0,1] neg_hi:[0,1]
	v_pk_mul_f32 v[132:133], v[126:127], s[14:15] op_sel_hi:[1,0]
	v_pk_add_f32 v[208:209], v[22:23], v[24:25] neg_lo:[0,1] neg_hi:[0,1]
	v_pk_add_f32 v[20:21], v[128:129], v[144:145]
	v_pk_mul_f32 v[148:149], v[142:143], s[16:17] op_sel_hi:[1,0]
	v_pk_add_f32 v[150:151], v[150:151], v[208:209]
	v_pk_add_f32 v[208:209], v[110:111], v[132:133] op_sel:[0,1] op_sel_hi:[1,0] neg_lo:[0,1] neg_hi:[0,1]
	v_pk_add_f32 v[110:111], v[110:111], v[132:133] op_sel:[0,1] op_sel_hi:[1,0]
	v_pk_add_f32 v[20:21], v[20:21], v[26:27]
	v_pk_add_f32 v[110:111], v[110:111], v[148:149] op_sel:[0,1] op_sel_hi:[1,0]
	v_pk_add_f32 v[132:133], v[208:209], v[148:149] op_sel:[0,1] op_sel_hi:[1,0] neg_lo:[0,1] neg_hi:[0,1]
	v_pk_add_f32 v[20:21], v[20:21], v[24:25]
	v_mov_b32_e32 v148, v132
	v_mov_b32_e32 v149, v111
	v_pk_add_f32 v[20:21], v[20:21], v[22:23]
	v_pk_fma_f32 v[148:149], v[150:151], s[0:1], v[148:149] op_sel_hi:[1,0,1]
	ds_write2_b64 v245, v[20:21], v[148:149] offset1:8
	v_pk_add_f32 v[20:21], v[144:145], v[22:23]
	v_pk_add_f32 v[26:27], v[26:27], v[144:145] neg_lo:[0,1] neg_hi:[0,1]
	v_pk_fma_f32 v[20:21], v[20:21], 0.5, v[128:129] op_sel_hi:[1,0,1] neg_lo:[1,0,0] neg_hi:[1,0,0]
	v_pk_add_f32 v[22:23], v[24:25], v[22:23] neg_lo:[0,1] neg_hi:[0,1]
	v_pk_mul_f32 v[24:25], v[142:143], s[14:15] op_sel_hi:[1,0]
	v_pk_add_f32 v[22:23], v[26:27], v[22:23]
	v_pk_mul_f32 v[26:27], v[126:127], s[16:17] op_sel_hi:[1,0]
	v_pk_add_f32 v[126:127], v[20:21], v[24:25] op_sel:[0,1] op_sel_hi:[1,0]
	v_pk_add_f32 v[20:21], v[20:21], v[24:25] op_sel:[0,1] op_sel_hi:[1,0] neg_lo:[0,1] neg_hi:[0,1]
	v_pk_add_f32 v[24:25], v[126:127], v[26:27] op_sel:[0,1] op_sel_hi:[1,0] neg_lo:[0,1] neg_hi:[0,1]
	v_pk_add_f32 v[20:21], v[20:21], v[26:27] op_sel:[0,1] op_sel_hi:[1,0]
	v_mov_b32_e32 v26, v24
	v_mov_b32_e32 v27, v21
	;; [unrolled: 1-line block ×3, first 2 shown]
	v_pk_fma_f32 v[26:27], v[22:23], s[0:1], v[26:27] op_sel_hi:[1,0,1]
	v_pk_fma_f32 v[20:21], v[22:23], s[0:1], v[20:21] op_sel_hi:[1,0,1]
	v_mov_b32_e32 v111, v133
	ds_write2_b64 v245, v[26:27], v[20:21] offset0:16 offset1:24
	v_pk_fma_f32 v[20:21], v[150:151], s[0:1], v[110:111] op_sel_hi:[1,0,1]
	ds_write_b64 v245, v[20:21] offset:256
	v_pk_add_f32 v[20:21], v[232:233], v[136:137]
	v_pk_add_f32 v[22:23], v[234:235], v[140:141] neg_lo:[0,1] neg_hi:[0,1]
	v_pk_fma_f32 v[20:21], v[20:21], 0.5, v[130:131] op_sel_hi:[1,0,1] neg_lo:[1,0,0] neg_hi:[1,0,0]
	v_pk_mul_f32 v[24:25], v[22:23], s[14:15] op_sel_hi:[1,0]
	v_pk_add_f32 v[26:27], v[232:233], v[136:137] neg_lo:[0,1] neg_hi:[0,1]
	v_pk_add_f32 v[126:127], v[234:235], v[232:233] neg_lo:[0,1] neg_hi:[0,1]
	;; [unrolled: 1-line block ×3, first 2 shown]
	v_pk_mul_f32 v[110:111], v[26:27], s[16:17] op_sel_hi:[1,0]
	v_pk_add_f32 v[126:127], v[126:127], v[128:129]
	v_pk_add_f32 v[128:129], v[20:21], v[24:25] op_sel:[0,1] op_sel_hi:[1,0] neg_lo:[0,1] neg_hi:[0,1]
	v_pk_add_f32 v[20:21], v[20:21], v[24:25] op_sel:[0,1] op_sel_hi:[1,0]
	v_pk_add_f32 v[24:25], v[128:129], v[110:111] op_sel:[0,1] op_sel_hi:[1,0] neg_lo:[0,1] neg_hi:[0,1]
	v_pk_add_f32 v[20:21], v[20:21], v[110:111] op_sel:[0,1] op_sel_hi:[1,0]
	v_pk_add_f32 v[134:135], v[134:135], v[136:137]
	v_mov_b32_e32 v110, v24
	v_mov_b32_e32 v111, v21
	v_pk_add_f32 v[134:135], v[134:135], v[140:141]
	v_pk_fma_f32 v[110:111], v[126:127], s[0:1], v[110:111] op_sel_hi:[1,0,1]
	ds_write2_b64 v238, v[134:135], v[110:111] offset1:8
	v_pk_add_f32 v[110:111], v[234:235], v[140:141]
	v_pk_add_f32 v[128:129], v[232:233], v[234:235] neg_lo:[0,1] neg_hi:[0,1]
	v_pk_fma_f32 v[110:111], v[110:111], 0.5, v[130:131] op_sel_hi:[1,0,1] neg_lo:[1,0,0] neg_hi:[1,0,0]
	v_pk_add_f32 v[130:131], v[136:137], v[140:141] neg_lo:[0,1] neg_hi:[0,1]
	v_pk_mul_f32 v[26:27], v[26:27], s[14:15] op_sel_hi:[1,0]
	v_pk_add_f32 v[128:129], v[128:129], v[130:131]
	v_pk_mul_f32 v[22:23], v[22:23], s[16:17] op_sel_hi:[1,0]
	v_pk_add_f32 v[130:131], v[110:111], v[26:27] op_sel:[0,1] op_sel_hi:[1,0]
	v_pk_add_f32 v[26:27], v[110:111], v[26:27] op_sel:[0,1] op_sel_hi:[1,0] neg_lo:[0,1] neg_hi:[0,1]
	v_mov_b32_e32 v21, v25
	v_pk_add_f32 v[26:27], v[26:27], v[22:23] op_sel:[0,1] op_sel_hi:[1,0]
	v_pk_add_f32 v[22:23], v[130:131], v[22:23] op_sel:[0,1] op_sel_hi:[1,0] neg_lo:[0,1] neg_hi:[0,1]
	v_mov_b32_e32 v111, v27
	v_mov_b32_e32 v110, v22
	;; [unrolled: 1-line block ×3, first 2 shown]
	v_pk_fma_f32 v[110:111], v[128:129], s[0:1], v[110:111] op_sel_hi:[1,0,1]
	v_pk_fma_f32 v[22:23], v[128:129], s[0:1], v[26:27] op_sel_hi:[1,0,1]
	;; [unrolled: 1-line block ×3, first 2 shown]
	ds_write2_b64 v238, v[110:111], v[22:23] offset0:16 offset1:24
	ds_write_b64 v238, v[20:21] offset:256
	v_pk_add_f32 v[20:21], v[138:139], v[224:225]
	v_pk_add_f32 v[22:23], v[220:221], v[226:227] neg_lo:[0,1] neg_hi:[0,1]
	v_pk_fma_f32 v[20:21], v[20:21], 0.5, v[122:123] op_sel_hi:[1,0,1] neg_lo:[1,0,0] neg_hi:[1,0,0]
	v_pk_mul_f32 v[24:25], v[22:23], s[14:15] op_sel_hi:[1,0]
	v_pk_add_f32 v[26:27], v[138:139], v[224:225] neg_lo:[0,1] neg_hi:[0,1]
	v_pk_add_f32 v[126:127], v[220:221], v[138:139] neg_lo:[0,1] neg_hi:[0,1]
	v_pk_add_f32 v[128:129], v[226:227], v[224:225] neg_lo:[0,1] neg_hi:[0,1]
	v_pk_mul_f32 v[110:111], v[26:27], s[16:17] op_sel_hi:[1,0]
	v_pk_add_f32 v[126:127], v[126:127], v[128:129]
	v_pk_add_f32 v[128:129], v[20:21], v[24:25] op_sel:[0,1] op_sel_hi:[1,0] neg_lo:[0,1] neg_hi:[0,1]
	v_pk_add_f32 v[20:21], v[20:21], v[24:25] op_sel:[0,1] op_sel_hi:[1,0]
	v_pk_add_f32 v[24:25], v[128:129], v[110:111] op_sel:[0,1] op_sel_hi:[1,0] neg_lo:[0,1] neg_hi:[0,1]
	v_pk_add_f32 v[20:21], v[20:21], v[110:111] op_sel:[0,1] op_sel_hi:[1,0]
	v_mov_b32_e32 v110, v24
	v_mov_b32_e32 v111, v21
	v_pk_fma_f32 v[110:111], v[126:127], s[0:1], v[110:111] op_sel_hi:[1,0,1]
	ds_write2_b64 v228, v[230:231], v[110:111] offset1:8
	v_pk_add_f32 v[110:111], v[220:221], v[226:227]
	v_pk_add_f32 v[128:129], v[224:225], v[226:227] neg_lo:[0,1] neg_hi:[0,1]
	v_pk_fma_f32 v[110:111], v[110:111], 0.5, v[122:123] op_sel_hi:[1,0,1] neg_lo:[1,0,0] neg_hi:[1,0,0]
	v_pk_add_f32 v[122:123], v[138:139], v[220:221] neg_lo:[0,1] neg_hi:[0,1]
	v_pk_mul_f32 v[26:27], v[26:27], s[14:15] op_sel_hi:[1,0]
	v_pk_add_f32 v[122:123], v[122:123], v[128:129]
	v_pk_mul_f32 v[22:23], v[22:23], s[16:17] op_sel_hi:[1,0]
	v_pk_add_f32 v[128:129], v[110:111], v[26:27] op_sel:[0,1] op_sel_hi:[1,0]
	v_pk_add_f32 v[26:27], v[110:111], v[26:27] op_sel:[0,1] op_sel_hi:[1,0] neg_lo:[0,1] neg_hi:[0,1]
	v_mov_b32_e32 v21, v25
	v_pk_add_f32 v[26:27], v[26:27], v[22:23] op_sel:[0,1] op_sel_hi:[1,0]
	v_pk_add_f32 v[22:23], v[128:129], v[22:23] op_sel:[0,1] op_sel_hi:[1,0] neg_lo:[0,1] neg_hi:[0,1]
	v_mov_b32_e32 v111, v27
	v_mov_b32_e32 v110, v22
	;; [unrolled: 1-line block ×3, first 2 shown]
	v_pk_fma_f32 v[110:111], v[122:123], s[0:1], v[110:111] op_sel_hi:[1,0,1]
	v_pk_fma_f32 v[22:23], v[122:123], s[0:1], v[26:27] op_sel_hi:[1,0,1]
	;; [unrolled: 1-line block ×3, first 2 shown]
	ds_write2_b64 v228, v[110:111], v[22:23] offset0:16 offset1:24
	ds_write_b64 v228, v[20:21] offset:256
	v_pk_add_f32 v[20:21], v[210:211], v[216:217]
	v_pk_add_f32 v[22:23], v[146:147], v[218:219] neg_lo:[0,1] neg_hi:[0,1]
	v_pk_fma_f32 v[20:21], v[20:21], 0.5, v[124:125] op_sel_hi:[1,0,1] neg_lo:[1,0,0] neg_hi:[1,0,0]
	v_pk_mul_f32 v[24:25], v[22:23], s[14:15] op_sel_hi:[1,0]
	v_pk_add_f32 v[26:27], v[210:211], v[216:217] neg_lo:[0,1] neg_hi:[0,1]
	v_pk_add_f32 v[122:123], v[146:147], v[210:211] neg_lo:[0,1] neg_hi:[0,1]
	;; [unrolled: 1-line block ×3, first 2 shown]
	v_pk_mul_f32 v[110:111], v[26:27], s[16:17] op_sel_hi:[1,0]
	v_pk_add_f32 v[122:123], v[122:123], v[126:127]
	v_pk_add_f32 v[126:127], v[20:21], v[24:25] op_sel:[0,1] op_sel_hi:[1,0] neg_lo:[0,1] neg_hi:[0,1]
	v_pk_add_f32 v[20:21], v[20:21], v[24:25] op_sel:[0,1] op_sel_hi:[1,0]
	v_pk_add_f32 v[24:25], v[126:127], v[110:111] op_sel:[0,1] op_sel_hi:[1,0] neg_lo:[0,1] neg_hi:[0,1]
	v_pk_add_f32 v[20:21], v[20:21], v[110:111] op_sel:[0,1] op_sel_hi:[1,0]
	v_mov_b32_e32 v110, v24
	v_mov_b32_e32 v111, v21
	v_pk_fma_f32 v[110:111], v[122:123], s[0:1], v[110:111] op_sel_hi:[1,0,1]
	ds_write2_b64 v223, v[120:121], v[110:111] offset1:8
	v_pk_add_f32 v[110:111], v[146:147], v[218:219]
	v_mov_b32_e32 v21, v25
	v_pk_fma_f32 v[110:111], v[110:111], 0.5, v[124:125] op_sel_hi:[1,0,1] neg_lo:[1,0,0] neg_hi:[1,0,0]
	v_pk_add_f32 v[120:121], v[210:211], v[146:147] neg_lo:[0,1] neg_hi:[0,1]
	v_pk_add_f32 v[124:125], v[216:217], v[218:219] neg_lo:[0,1] neg_hi:[0,1]
	v_pk_mul_f32 v[26:27], v[26:27], s[14:15] op_sel_hi:[1,0]
	v_pk_fma_f32 v[20:21], v[122:123], s[0:1], v[20:21] op_sel_hi:[1,0,1]
	v_pk_add_f32 v[120:121], v[120:121], v[124:125]
	v_pk_mul_f32 v[22:23], v[22:23], s[16:17] op_sel_hi:[1,0]
	v_pk_add_f32 v[124:125], v[110:111], v[26:27] op_sel:[0,1] op_sel_hi:[1,0]
	v_pk_add_f32 v[26:27], v[110:111], v[26:27] op_sel:[0,1] op_sel_hi:[1,0] neg_lo:[0,1] neg_hi:[0,1]
	ds_write_b64 v223, v[20:21] offset:256
	v_pk_add_f32 v[20:21], v[108:109], v[112:113]
	v_pk_add_f32 v[26:27], v[26:27], v[22:23] op_sel:[0,1] op_sel_hi:[1,0]
	v_pk_add_f32 v[22:23], v[124:125], v[22:23] op_sel:[0,1] op_sel_hi:[1,0] neg_lo:[0,1] neg_hi:[0,1]
	v_pk_add_f32 v[20:21], v[20:21], v[114:115]
	v_mov_b32_e32 v110, v22
	v_mov_b32_e32 v111, v27
	;; [unrolled: 1-line block ×3, first 2 shown]
	v_pk_add_f32 v[20:21], v[20:21], v[116:117]
	v_pk_fma_f32 v[110:111], v[120:121], s[0:1], v[110:111] op_sel_hi:[1,0,1]
	v_pk_fma_f32 v[22:23], v[120:121], s[0:1], v[26:27] op_sel_hi:[1,0,1]
	v_pk_add_f32 v[20:21], v[20:21], v[118:119]
	ds_write2_b64 v223, v[110:111], v[22:23] offset0:16 offset1:24
	ds_write2_b64 v255, v[20:21], v[100:101] offset1:8
	ds_write2_b64 v255, v[102:103], v[104:105] offset0:16 offset1:24
	ds_write_b64 v255, v[106:107] offset:256
	s_waitcnt lgkmcnt(0)
	; wave barrier
	s_waitcnt lgkmcnt(0)
	ds_read2_b64 v[116:119], v152 offset1:56
	ds_read2_b64 v[20:23], v152 offset0:112 offset1:200
	ds_read2_b64 v[120:123], v154 offset0:144 offset1:200
	ds_read2_b64 v[24:27], v156 offset1:88
	ds_read2_b64 v[136:139], v155 offset0:32 offset1:88
	ds_read2_b64 v[128:131], v155 offset0:144 offset1:232
	;; [unrolled: 1-line block ×3, first 2 shown]
	ds_read2_b64 v[112:115], v154 offset1:56
	ds_read2_b64 v[132:135], v156 offset0:144 offset1:200
	ds_read2_b64 v[108:111], v157 offset0:32 offset1:88
	ds_read_b64 v[238:239], v152 offset:10496
	s_and_saveexec_b64 s[0:1], s[4:5]
	s_xor_b64 s[0:1], exec, s[0:1]
	s_andn2_saveexec_b64 s[0:1], s[0:1]
	s_cbranch_execz .LBB0_37
; %bb.36:
	v_add_u32_e32 v56, 0x400, v152
	ds_read2_b64 v[100:103], v56 offset0:40 offset1:240
	v_add_u32_e32 v56, 0x1e00, v152
	ds_read2_b64 v[56:59], v56 offset0:8 offset1:208
	ds_read_b64 v[140:141], v152 offset:10944
	v_add_u32_e32 v104, 0x1100, v152
	ds_read2_b64 v[104:107], v104 offset0:24 offset1:224
	s_waitcnt lgkmcnt(2)
	v_mov_b32_e32 v212, v59
	s_waitcnt lgkmcnt(1)
	v_mov_b32_e32 v213, v141
	v_mov_b32_e32 v59, v140
.LBB0_37:
	s_or_b64 exec, exec, s[0:1]
	s_waitcnt lgkmcnt(9)
	v_pk_mul_f32 v[244:245], v[40:41], v[22:23] op_sel_hi:[1,0]
	v_mov_b32_e32 v248, v23
	s_waitcnt lgkmcnt(8)
	v_pk_mul_f32 v[250:251], v[42:43], v[120:121] op_sel_hi:[1,0]
	v_mov_b32_e32 v252, v121
	v_mov_b32_e32 v240, v45
	s_waitcnt lgkmcnt(7)
	v_pk_mul_f32 v[242:243], v[44:45], v[26:27] op_sel:[0,1] op_sel_hi:[1,0]
	v_pk_fma_f32 v[248:249], v[40:41], v[248:249], v[244:245] op_sel:[0,0,1] op_sel_hi:[1,1,0] neg_lo:[0,0,1] neg_hi:[0,0,1]
	v_pk_fma_f32 v[22:23], v[40:41], v[22:23], v[244:245] op_sel:[0,1,1] op_sel_hi:[1,1,0]
	v_pk_mul_f32 v[154:155], v[240:241], v[26:27] op_sel:[0,1] op_sel_hi:[1,0]
	v_mov_b32_e32 v240, v243
	s_waitcnt lgkmcnt(5)
	v_pk_mul_f32 v[162:163], v[36:37], v[130:131] op_sel_hi:[1,0]
	v_mov_b32_e32 v164, v131
	v_mov_b32_e32 v249, v23
	v_pk_fma_f32 v[22:23], v[42:43], v[252:253], v[250:251] op_sel:[0,0,1] op_sel_hi:[1,1,0] neg_lo:[0,0,1] neg_hi:[0,0,1]
	v_pk_fma_f32 v[40:41], v[42:43], v[120:121], v[250:251] op_sel:[0,1,1] op_sel_hi:[1,1,0]
	v_pk_mul_f32 v[254:255], v[44:45], v[26:27]
	v_pk_fma_f32 v[246:247], v[44:45], v[26:27], v[240:241] op_sel:[0,1,0] op_sel_hi:[1,0,1] neg_lo:[0,0,1] neg_hi:[0,0,1]
	v_mov_b32_e32 v26, v47
	s_waitcnt lgkmcnt(4)
	v_pk_mul_f32 v[166:167], v[38:39], v[124:125] op_sel_hi:[1,0]
	v_mov_b32_e32 v168, v125
	v_mov_b32_e32 v23, v41
	v_pk_fma_f32 v[40:41], v[36:37], v[164:165], v[162:163] op_sel:[0,0,1] op_sel_hi:[1,1,0] neg_lo:[0,0,1] neg_hi:[0,0,1]
	v_pk_fma_f32 v[36:37], v[36:37], v[130:131], v[162:163] op_sel:[0,1,1] op_sel_hi:[1,1,0]
	v_pk_mul_f32 v[156:157], v[46:47], v[136:137]
	v_pk_mul_f32 v[158:159], v[26:27], v[136:137] op_sel:[0,1] op_sel_hi:[1,0]
	v_pk_mul_f32 v[26:27], v[46:47], v[136:137] op_sel:[0,1] op_sel_hi:[1,0]
	v_mov_b32_e32 v41, v37
	v_pk_fma_f32 v[36:37], v[38:39], v[168:169], v[166:167] op_sel:[0,0,1] op_sel_hi:[1,1,0] neg_lo:[0,0,1] neg_hi:[0,0,1]
	v_pk_fma_f32 v[38:39], v[38:39], v[124:125], v[166:167] op_sel:[0,1,1] op_sel_hi:[1,1,0]
	v_mov_b32_e32 v26, v27
	v_mov_b32_e32 v37, v39
	;; [unrolled: 1-line block ×6, first 2 shown]
	v_pk_fma_f32 v[160:161], v[46:47], v[136:137], v[26:27] op_sel:[0,1,0] op_sel_hi:[1,0,1] neg_lo:[0,0,1] neg_hi:[0,0,1]
	v_pk_add_f32 v[38:39], v[248:249], v[36:37]
	v_pk_add_f32 v[42:43], v[248:249], v[36:37] neg_lo:[0,1] neg_hi:[0,1]
	v_pk_add_f32 v[120:121], v[22:23], v[40:41]
	v_pk_add_f32 v[124:125], v[22:23], v[40:41] neg_lo:[0,1] neg_hi:[0,1]
	v_pk_add_f32 v[36:37], v[156:157], v[158:159]
	v_pk_add_f32 v[22:23], v[254:255], v[154:155]
	v_mov_b32_e32 v161, v36
	v_mov_b32_e32 v247, v22
	;; [unrolled: 1-line block ×6, first 2 shown]
	v_pk_add_f32 v[40:41], v[160:161], v[246:247] neg_lo:[0,1] neg_hi:[0,1]
	v_pk_add_f32 v[158:159], v[158:159], v[162:163]
	v_pk_add_f32 v[160:161], v[22:23], v[36:37]
	v_mov_b32_e32 v130, v40
	v_mov_b32_e32 v131, v43
	;; [unrolled: 1-line block ×4, first 2 shown]
	s_mov_b32 s4, 0x3f08b237
	v_mov_b32_e32 v36, v160
	v_mov_b32_e32 v162, v121
	;; [unrolled: 1-line block ×3, first 2 shown]
	s_mov_b32 s20, 0x3d64c772
	v_pk_add_f32 v[130:131], v[130:131], v[154:155] neg_lo:[0,1] neg_hi:[0,1]
	s_mov_b32 s5, 0xbeae86e6
	v_mov_b32_e32 v154, v42
	v_mov_b32_e32 v156, v40
	;; [unrolled: 1-line block ×3, first 2 shown]
	v_pk_add_f32 v[162:163], v[36:37], v[162:163] neg_lo:[0,1] neg_hi:[0,1]
	v_mov_b32_e32 v164, v39
	v_mov_b32_e32 v165, v159
	;; [unrolled: 1-line block ×3, first 2 shown]
	v_pk_add_f32 v[158:159], v[158:159], v[160:161]
	s_mov_b32 s21, 0x3f4a47b2
	v_pk_mul_f32 v[130:131], v[130:131], s[4:5]
	v_pk_add_f32 v[154:155], v[154:155], v[156:157] neg_lo:[0,1] neg_hi:[0,1]
	s_mov_b32 s18, s5
	s_mov_b32 s19, s4
	v_pk_add_f32 v[40:41], v[40:41], v[124:125]
	v_pk_add_f32 v[164:165], v[164:165], v[22:23] neg_lo:[0,1] neg_hi:[0,1]
	v_pk_add_f32 v[116:117], v[116:117], v[158:159]
	s_mov_b32 s24, 0x3f955555
	v_pk_mul_f32 v[160:161], v[162:163], s[20:21]
	s_mov_b32 s22, s21
	s_mov_b32 s23, s20
	v_pk_mul_f32 v[156:157], v[154:155], s[18:19]
	v_pk_add_f32 v[40:41], v[40:41], v[42:43]
	s_mov_b32 s0, 0xbee1c552
	v_pk_mul_f32 v[162:163], v[164:165], s[22:23]
	v_pk_fma_f32 v[158:159], v[158:159], s[24:25], v[116:117] op_sel_hi:[1,0,1] neg_lo:[1,0,0] neg_hi:[1,0,0]
	v_pk_fma_f32 v[164:165], v[164:165], s[22:23], v[160:161]
	v_pk_fma_f32 v[154:155], v[154:155], s[18:19], v[130:131]
	v_mov_b32_e32 v22, v121
	v_mov_b32_e32 v36, v39
	v_pk_add_f32 v[164:165], v[164:165], v[158:159]
	v_pk_fma_f32 v[154:155], v[40:41], s[0:1], v[154:155] op_sel_hi:[1,0,1]
	v_pk_add_f32 v[42:43], v[124:125], v[42:43] neg_lo:[0,1] neg_hi:[0,1]
	s_mov_b32 s14, 0xbf5ff5aa
	v_pk_add_f32 v[22:23], v[22:23], v[36:37] neg_lo:[0,1] neg_hi:[0,1]
	s_mov_b32 s16, 0x3f3bfb3b
	v_mov_b32_e32 v36, v162
	v_mov_b32_e32 v37, v161
	;; [unrolled: 1-line block ×6, first 2 shown]
	v_pk_add_f32 v[166:167], v[164:165], v[154:155]
	v_pk_add_f32 v[154:155], v[164:165], v[154:155] neg_lo:[0,1] neg_hi:[0,1]
	v_pk_fma_f32 v[36:37], v[22:23], s[16:17], v[36:37] op_sel_hi:[1,0,1] neg_lo:[1,0,1] neg_hi:[1,0,1]
	v_pk_fma_f32 v[38:39], v[42:43], s[14:15], v[38:39] op_sel_hi:[1,0,1] neg_lo:[1,0,1] neg_hi:[1,0,1]
	;; [unrolled: 1-line block ×4, first 2 shown]
	v_mov_b32_e32 v164, v166
	v_mov_b32_e32 v165, v155
	v_pk_add_f32 v[36:37], v[36:37], v[158:159]
	v_pk_fma_f32 v[38:39], v[40:41], s[0:1], v[38:39] op_sel_hi:[1,0,1]
	v_pk_add_f32 v[22:23], v[22:23], v[158:159]
	v_pk_fma_f32 v[40:41], v[40:41], s[0:1], v[42:43] op_sel_hi:[1,0,1]
	s_waitcnt lgkmcnt(0)
	; wave barrier
	s_waitcnt lgkmcnt(0)
	ds_write2_b64 v241, v[116:117], v[164:165] offset1:40
	v_pk_add_f32 v[116:117], v[36:37], v[38:39]
	v_pk_add_f32 v[36:37], v[36:37], v[38:39] neg_lo:[0,1] neg_hi:[0,1]
	v_pk_add_f32 v[42:43], v[22:23], v[40:41] neg_lo:[0,1] neg_hi:[0,1]
	v_pk_add_f32 v[22:23], v[22:23], v[40:41]
	v_pk_mul_f32 v[172:173], v[32:33], v[112:113] op_sel_hi:[1,0]
	v_mov_b32_e32 v174, v113
	v_mov_b32_e32 v26, v49
	;; [unrolled: 1-line block ×6, first 2 shown]
	v_pk_mul_f32 v[176:177], v[34:35], v[122:123] op_sel_hi:[1,0]
	v_mov_b32_e32 v180, v123
	v_pk_mul_f32 v[184:185], v[26:27], v[132:133] op_sel:[0,1] op_sel_hi:[1,0]
	v_pk_mul_f32 v[26:27], v[48:49], v[132:133] op_sel:[0,1] op_sel_hi:[1,0]
	ds_write2_b64 v241, v[22:23], v[36:37] offset0:160 offset1:200
	v_pk_fma_f32 v[22:23], v[32:33], v[174:175], v[172:173] op_sel:[0,0,1] op_sel_hi:[1,1,0] neg_lo:[0,0,1] neg_hi:[0,0,1]
	v_pk_fma_f32 v[32:33], v[32:33], v[112:113], v[172:173] op_sel:[0,1,1] op_sel_hi:[1,1,0]
	v_mov_b32_e32 v26, v27
	v_pk_mul_f32 v[194:195], v[28:29], v[108:109] op_sel_hi:[1,0]
	v_mov_b32_e32 v196, v109
	v_mov_b32_e32 v23, v33
	v_pk_fma_f32 v[32:33], v[34:35], v[180:181], v[176:177] op_sel:[0,0,1] op_sel_hi:[1,1,0] neg_lo:[0,0,1] neg_hi:[0,0,1]
	v_pk_fma_f32 v[34:35], v[34:35], v[122:123], v[176:177] op_sel:[0,1,1] op_sel_hi:[1,1,0]
	v_pk_fma_f32 v[186:187], v[48:49], v[132:133], v[26:27] op_sel:[0,1,0] op_sel_hi:[1,0,1] neg_lo:[0,0,1] neg_hi:[0,0,1]
	v_mov_b32_e32 v26, v51
	v_pk_mul_f32 v[198:199], v[30:31], v[126:127] op_sel_hi:[1,0]
	v_mov_b32_e32 v200, v127
	v_mov_b32_e32 v33, v35
	v_pk_fma_f32 v[34:35], v[28:29], v[196:197], v[194:195] op_sel:[0,0,1] op_sel_hi:[1,1,0] neg_lo:[0,0,1] neg_hi:[0,0,1]
	v_pk_fma_f32 v[28:29], v[28:29], v[108:109], v[194:195] op_sel:[0,1,1] op_sel_hi:[1,1,0]
	v_pk_mul_f32 v[182:183], v[48:49], v[132:133]
	v_pk_mul_f32 v[188:189], v[50:51], v[138:139]
	v_pk_mul_f32 v[190:191], v[26:27], v[138:139] op_sel:[0,1] op_sel_hi:[1,0]
	v_pk_mul_f32 v[26:27], v[50:51], v[138:139] op_sel:[0,1] op_sel_hi:[1,0]
	v_mov_b32_e32 v35, v29
	v_pk_fma_f32 v[28:29], v[30:31], v[200:201], v[198:199] op_sel:[0,0,1] op_sel_hi:[1,1,0] neg_lo:[0,0,1] neg_hi:[0,0,1]
	v_pk_fma_f32 v[30:31], v[30:31], v[126:127], v[198:199] op_sel:[0,1,1] op_sel_hi:[1,1,0]
	v_mov_b32_e32 v26, v27
	v_mov_b32_e32 v29, v31
	;; [unrolled: 1-line block ×6, first 2 shown]
	v_pk_fma_f32 v[192:193], v[50:51], v[138:139], v[26:27] op_sel:[0,1,0] op_sel_hi:[1,0,1] neg_lo:[0,0,1] neg_hi:[0,0,1]
	v_mov_b32_e32 v38, v116
	v_mov_b32_e32 v40, v42
	v_pk_add_f32 v[30:31], v[22:23], v[28:29]
	v_pk_add_f32 v[36:37], v[22:23], v[28:29] neg_lo:[0,1] neg_hi:[0,1]
	v_pk_add_f32 v[22:23], v[188:189], v[190:191]
	v_pk_add_f32 v[28:29], v[182:183], v[184:185]
	ds_write2_b64 v241, v[38:39], v[40:41] offset0:80 offset1:120
	v_pk_add_f32 v[38:39], v[32:33], v[34:35]
	v_mov_b32_e32 v193, v22
	v_mov_b32_e32 v187, v28
	v_pk_add_f32 v[40:41], v[32:33], v[34:35] neg_lo:[0,1] neg_hi:[0,1]
	v_pk_add_f32 v[32:33], v[192:193], v[186:187] neg_lo:[0,1] neg_hi:[0,1]
	v_mov_b32_e32 v112, v39
	v_mov_b32_e32 v113, v186
	;; [unrolled: 1-line block ×8, first 2 shown]
	v_pk_add_f32 v[112:113], v[112:113], v[116:117]
	v_pk_add_f32 v[116:117], v[28:29], v[22:23]
	v_pk_add_f32 v[34:35], v[34:35], v[42:43] neg_lo:[0,1] neg_hi:[0,1]
	v_mov_b32_e32 v42, v36
	v_mov_b32_e32 v108, v32
	;; [unrolled: 1-line block ×9, first 2 shown]
	v_pk_add_f32 v[42:43], v[42:43], v[108:109] neg_lo:[0,1] neg_hi:[0,1]
	v_pk_add_f32 v[120:121], v[22:23], v[120:121] neg_lo:[0,1] neg_hi:[0,1]
	;; [unrolled: 1-line block ×3, first 2 shown]
	v_pk_add_f32 v[112:113], v[112:113], v[116:117]
	v_pk_mul_f32 v[34:35], v[34:35], s[4:5]
	v_pk_mul_f32 v[108:109], v[42:43], s[18:19]
	v_pk_add_f32 v[32:33], v[32:33], v[40:41]
	v_pk_add_f32 v[116:117], v[118:119], v[112:113]
	v_pk_mul_f32 v[118:119], v[120:121], s[20:21]
	v_pk_mul_f32 v[120:121], v[122:123], s[22:23]
	v_mov_b32_e32 v28, v39
	v_mov_b32_e32 v22, v31
	v_pk_add_f32 v[32:33], v[32:33], v[36:37]
	v_pk_fma_f32 v[122:123], v[122:123], s[22:23], v[118:119]
	v_pk_fma_f32 v[42:43], v[42:43], s[18:19], v[34:35]
	v_pk_add_f32 v[36:37], v[40:41], v[36:37] neg_lo:[0,1] neg_hi:[0,1]
	v_pk_add_f32 v[22:23], v[28:29], v[22:23] neg_lo:[0,1] neg_hi:[0,1]
	v_mov_b32_e32 v28, v120
	v_mov_b32_e32 v29, v119
	;; [unrolled: 1-line block ×7, first 2 shown]
	v_pk_fma_f32 v[112:113], v[112:113], s[24:25], v[116:117] op_sel_hi:[1,0,1] neg_lo:[1,0,0] neg_hi:[1,0,0]
	v_pk_fma_f32 v[28:29], v[22:23], s[16:17], v[28:29] op_sel_hi:[1,0,1] neg_lo:[1,0,1] neg_hi:[1,0,1]
	;; [unrolled: 1-line block ×5, first 2 shown]
	v_pk_mul_f32 v[48:49], v[26:27], v[134:135] op_sel:[0,1] op_sel_hi:[1,0]
	v_pk_mul_f32 v[26:27], v[52:53], v[134:135] op_sel:[0,1] op_sel_hi:[1,0]
	v_pk_fma_f32 v[42:43], v[32:33], s[0:1], v[42:43] op_sel_hi:[1,0,1]
	v_pk_add_f32 v[28:29], v[28:29], v[112:113]
	v_pk_fma_f32 v[30:31], v[32:33], s[0:1], v[30:31] op_sel_hi:[1,0,1]
	v_pk_add_f32 v[22:23], v[22:23], v[112:113]
	v_pk_fma_f32 v[32:33], v[32:33], s[0:1], v[34:35] op_sel_hi:[1,0,1]
	v_mov_b32_e32 v26, v27
	v_mov_b32_e32 v44, v55
	v_pk_add_f32 v[38:39], v[28:29], v[30:31]
	v_pk_add_f32 v[28:29], v[28:29], v[30:31] neg_lo:[0,1] neg_hi:[0,1]
	v_pk_add_f32 v[34:35], v[22:23], v[32:33] neg_lo:[0,1] neg_hi:[0,1]
	v_pk_add_f32 v[22:23], v[22:23], v[32:33]
	v_pk_mul_f32 v[136:137], v[16:17], v[114:115] op_sel_hi:[1,0]
	v_mov_b32_e32 v240, v115
	v_pk_mul_f32 v[46:47], v[52:53], v[134:135]
	v_pk_fma_f32 v[26:27], v[52:53], v[134:135], v[26:27] op_sel:[0,1,0] op_sel_hi:[1,0,1] neg_lo:[0,0,1] neg_hi:[0,0,1]
	v_pk_mul_f32 v[52:53], v[44:45], v[128:129] op_sel:[0,1] op_sel_hi:[1,0]
	v_pk_mul_f32 v[44:45], v[54:55], v[128:129] op_sel:[0,1] op_sel_hi:[1,0]
	v_mov_b32_e32 v155, v167
	v_mov_b32_e32 v31, v29
	;; [unrolled: 1-line block ×5, first 2 shown]
	v_pk_mul_f32 v[132:133], v[18:19], v[24:25] op_sel_hi:[1,0]
	v_mov_b32_e32 v138, v25
	v_mov_b32_e32 v44, v45
	ds_write_b64 v241, v[154:155] offset:1920
	ds_write2_b64 v179, v[22:23], v[28:29] offset0:160 offset1:200
	v_pk_fma_f32 v[22:23], v[16:17], v[240:241], v[136:137] op_sel:[0,0,1] op_sel_hi:[1,1,0] neg_lo:[0,0,1] neg_hi:[0,0,1]
	v_pk_fma_f32 v[16:17], v[16:17], v[114:115], v[136:137] op_sel:[0,1,1] op_sel_hi:[1,1,0]
	v_pk_mul_f32 v[50:51], v[54:55], v[128:129]
	v_pk_fma_f32 v[44:45], v[54:55], v[128:129], v[44:45] op_sel:[0,1,0] op_sel_hi:[1,0,1] neg_lo:[0,0,1] neg_hi:[0,0,1]
	v_pk_mul_f32 v[128:129], v[12:13], v[110:111] op_sel_hi:[1,0]
	v_mov_b32_e32 v242, v111
	v_mov_b32_e32 v23, v17
	v_pk_fma_f32 v[16:17], v[18:19], v[138:139], v[132:133] op_sel:[0,0,1] op_sel_hi:[1,1,0] neg_lo:[0,0,1] neg_hi:[0,0,1]
	v_pk_fma_f32 v[18:19], v[18:19], v[24:25], v[132:133] op_sel:[0,1,1] op_sel_hi:[1,1,0]
	v_pk_mul_f32 v[54:55], v[14:15], v[238:239] op_sel_hi:[1,0]
	v_mov_b32_e32 v134, v239
	v_mov_b32_e32 v17, v19
	v_pk_fma_f32 v[18:19], v[12:13], v[242:243], v[128:129] op_sel:[0,0,1] op_sel_hi:[1,1,0] neg_lo:[0,0,1] neg_hi:[0,0,1]
	v_pk_fma_f32 v[12:13], v[12:13], v[110:111], v[128:129] op_sel:[0,1,1] op_sel_hi:[1,1,0]
	v_mov_b32_e32 v30, v38
	v_mov_b32_e32 v19, v13
	v_pk_fma_f32 v[12:13], v[14:15], v[134:135], v[54:55] op_sel:[0,0,1] op_sel_hi:[1,1,0] neg_lo:[0,0,1] neg_hi:[0,0,1]
	v_pk_fma_f32 v[14:15], v[14:15], v[238:239], v[54:55] op_sel:[0,1,1] op_sel_hi:[1,1,0]
	v_mov_b32_e32 v32, v34
	v_mov_b32_e32 v13, v15
	;; [unrolled: 1-line block ×6, first 2 shown]
	ds_write2_b64 v179, v[30:31], v[32:33] offset0:80 offset1:120
	v_pk_add_f32 v[14:15], v[22:23], v[12:13]
	v_pk_add_f32 v[24:25], v[22:23], v[12:13] neg_lo:[0,1] neg_hi:[0,1]
	v_pk_add_f32 v[28:29], v[16:17], v[18:19]
	v_pk_add_f32 v[30:31], v[16:17], v[18:19] neg_lo:[0,1] neg_hi:[0,1]
	v_pk_add_f32 v[12:13], v[50:51], v[52:53]
	v_pk_add_f32 v[16:17], v[46:47], v[48:49]
	v_mov_b32_e32 v45, v12
	v_mov_b32_e32 v27, v16
	v_pk_add_f32 v[18:19], v[44:45], v[26:27] neg_lo:[0,1] neg_hi:[0,1]
	v_mov_b32_e32 v36, v29
	v_mov_b32_e32 v37, v26
	;; [unrolled: 1-line block ×4, first 2 shown]
	v_pk_add_f32 v[26:27], v[36:37], v[26:27]
	v_pk_add_f32 v[36:37], v[16:17], v[12:13]
	v_mov_b32_e32 v22, v18
	v_mov_b32_e32 v23, v25
	;; [unrolled: 1-line block ×7, first 2 shown]
	v_pk_add_f32 v[22:23], v[22:23], v[32:33] neg_lo:[0,1] neg_hi:[0,1]
	v_mov_b32_e32 v32, v24
	v_mov_b32_e32 v34, v18
	;; [unrolled: 1-line block ×3, first 2 shown]
	v_pk_add_f32 v[38:39], v[12:13], v[38:39] neg_lo:[0,1] neg_hi:[0,1]
	v_mov_b32_e32 v40, v15
	v_mov_b32_e32 v41, v27
	;; [unrolled: 1-line block ×3, first 2 shown]
	v_pk_add_f32 v[26:27], v[26:27], v[36:37]
	v_pk_add_f32 v[122:123], v[122:123], v[112:113]
	v_pk_mul_f32 v[22:23], v[22:23], s[4:5]
	v_pk_add_f32 v[32:33], v[32:33], v[34:35] neg_lo:[0,1] neg_hi:[0,1]
	v_pk_add_f32 v[18:19], v[18:19], v[30:31]
	v_pk_add_f32 v[40:41], v[40:41], v[16:17] neg_lo:[0,1] neg_hi:[0,1]
	v_pk_add_f32 v[20:21], v[20:21], v[26:27]
	v_pk_mul_f32 v[36:37], v[38:39], s[20:21]
	v_pk_add_f32 v[124:125], v[122:123], v[42:43]
	v_pk_add_f32 v[42:43], v[122:123], v[42:43] neg_lo:[0,1] neg_hi:[0,1]
	v_pk_mul_f32 v[34:35], v[32:33], s[18:19]
	v_pk_add_f32 v[18:19], v[18:19], v[24:25]
	v_pk_mul_f32 v[38:39], v[40:41], s[22:23]
	v_pk_fma_f32 v[26:27], v[26:27], s[24:25], v[20:21] op_sel_hi:[1,0,1] neg_lo:[1,0,0] neg_hi:[1,0,0]
	v_pk_fma_f32 v[40:41], v[40:41], s[22:23], v[36:37]
	v_pk_fma_f32 v[32:33], v[32:33], s[18:19], v[22:23]
	v_mov_b32_e32 v123, v43
	v_mov_b32_e32 v43, v125
	v_pk_add_f32 v[40:41], v[40:41], v[26:27]
	v_pk_fma_f32 v[32:33], v[18:19], s[0:1], v[32:33] op_sel_hi:[1,0,1]
	ds_write_b64 v179, v[42:43] offset:1920
	v_pk_add_f32 v[42:43], v[40:41], v[32:33]
	v_pk_add_f32 v[32:33], v[40:41], v[32:33] neg_lo:[0,1] neg_hi:[0,1]
	v_mov_b32_e32 v122, v124
	v_mov_b32_e32 v40, v42
	;; [unrolled: 1-line block ×5, first 2 shown]
	ds_write2_b64 v179, v[116:117], v[122:123] offset1:40
	ds_write2_b64 v153, v[20:21], v[40:41] offset1:40
	v_pk_add_f32 v[20:21], v[30:31], v[24:25] neg_lo:[0,1] neg_hi:[0,1]
	v_pk_add_f32 v[12:13], v[16:17], v[12:13] neg_lo:[0,1] neg_hi:[0,1]
	v_mov_b32_e32 v14, v38
	v_mov_b32_e32 v15, v37
	;; [unrolled: 1-line block ×6, first 2 shown]
	v_pk_fma_f32 v[14:15], v[12:13], s[16:17], v[14:15] op_sel_hi:[1,0,1] neg_lo:[1,0,1] neg_hi:[1,0,1]
	v_pk_fma_f32 v[16:17], v[20:21], s[14:15], v[16:17] op_sel_hi:[1,0,1] neg_lo:[1,0,1] neg_hi:[1,0,1]
	;; [unrolled: 1-line block ×4, first 2 shown]
	v_pk_add_f32 v[14:15], v[14:15], v[26:27]
	v_pk_fma_f32 v[16:17], v[18:19], s[0:1], v[16:17] op_sel_hi:[1,0,1]
	v_pk_add_f32 v[12:13], v[12:13], v[26:27]
	v_pk_fma_f32 v[18:19], v[18:19], s[0:1], v[20:21] op_sel_hi:[1,0,1]
	v_pk_add_f32 v[24:25], v[14:15], v[16:17]
	v_pk_add_f32 v[14:15], v[14:15], v[16:17] neg_lo:[0,1] neg_hi:[0,1]
	v_pk_add_f32 v[20:21], v[12:13], v[18:19] neg_lo:[0,1] neg_hi:[0,1]
	v_pk_add_f32 v[12:13], v[12:13], v[18:19]
	v_mov_b32_e32 v146, v84
	v_mov_b32_e32 v147, v84
	v_mov_b32_e32 v84, v85
	v_mov_b32_e32 v144, v86
	v_mov_b32_e32 v145, v86
	v_mov_b32_e32 v86, v87
	v_mov_b32_e32 v142, v76
	v_mov_b32_e32 v143, v76
	v_mov_b32_e32 v76, v77
	v_mov_b32_e32 v140, v78
	v_mov_b32_e32 v141, v78
	v_mov_b32_e32 v78, v79
	v_mov_b32_e32 v236, v96
	v_mov_b32_e32 v237, v96
	v_mov_b32_e32 v96, v97
	v_mov_b32_e32 v234, v98
	v_mov_b32_e32 v235, v98
	v_mov_b32_e32 v98, v99
	v_mov_b32_e32 v232, v92
	v_mov_b32_e32 v233, v92
	v_mov_b32_e32 v92, v93
	v_mov_b32_e32 v230, v94
	v_mov_b32_e32 v231, v94
	v_mov_b32_e32 v94, v95
	v_mov_b32_e32 v228, v88
	v_mov_b32_e32 v229, v88
	v_mov_b32_e32 v88, v89
	v_mov_b32_e32 v226, v90
	v_mov_b32_e32 v227, v90
	v_mov_b32_e32 v90, v91
	v_mov_b32_e32 v224, v80
	v_mov_b32_e32 v225, v80
	v_mov_b32_e32 v80, v81
	v_mov_b32_e32 v222, v82
	v_mov_b32_e32 v223, v82
	v_mov_b32_e32 v82, v83
	v_mov_b32_e32 v220, v72
	v_mov_b32_e32 v221, v72
	v_mov_b32_e32 v72, v73
	v_mov_b32_e32 v218, v74
	v_mov_b32_e32 v219, v74
	v_mov_b32_e32 v74, v75
	v_mov_b32_e32 v216, v68
	v_mov_b32_e32 v217, v68
	v_mov_b32_e32 v68, v69
	v_mov_b32_e32 v214, v70
	v_mov_b32_e32 v215, v70
	v_mov_b32_e32 v70, v71
	v_mov_b32_e32 v210, v64
	v_mov_b32_e32 v211, v64
	v_mov_b32_e32 v64, v65
	v_mov_b32_e32 v208, v66
	v_mov_b32_e32 v209, v66
	v_mov_b32_e32 v66, v67
	v_mov_b32_e32 v150, v60
	v_mov_b32_e32 v151, v60
	v_mov_b32_e32 v60, v61
	v_mov_b32_e32 v148, v62
	v_mov_b32_e32 v149, v62
	v_mov_b32_e32 v62, v63
	v_mov_b32_e32 v16, v24
	v_mov_b32_e32 v17, v15
	v_mov_b32_e32 v18, v20
	v_mov_b32_e32 v19, v13
	v_mov_b32_e32 v13, v21
	v_mov_b32_e32 v15, v25
	v_mov_b32_e32 v33, v43
	ds_write2_b64 v153, v[16:17], v[18:19] offset0:80 offset1:120
	ds_write2_b64 v153, v[12:13], v[14:15] offset0:160 offset1:200
	ds_write_b64 v153, v[32:33] offset:1920
	s_and_saveexec_b64 s[24:25], s[2:3]
	s_cbranch_execz .LBB0_39
; %bb.38:
	v_mov_b32_e32 v12, v9
	v_mov_b32_e32 v13, v8
	v_pk_mul_f32 v[28:29], v[12:13], v[106:107]
	v_mov_b32_e32 v14, v11
	v_mov_b32_e32 v15, v10
	;; [unrolled: 1-line block ×4, first 2 shown]
	v_pk_mul_f32 v[22:23], v[12:13], v[22:23]
	v_pk_fma_f32 v[12:13], v[12:13], v[106:107], v[28:29] neg_lo:[1,0,0] neg_hi:[1,0,0]
	v_pk_mul_f32 v[28:29], v[14:15], v[56:57]
	v_pk_mul_f32 v[18:19], v[2:3], v[58:59] op_sel:[0,1]
	v_mov_b32_e32 v20, v57
	v_mov_b32_e32 v28, v29
	v_pk_mul_f32 v[16:17], v[4:5], v[102:103] op_sel_hi:[1,0]
	v_pk_mul_f32 v[20:21], v[14:15], v[20:21]
	v_pk_fma_f32 v[14:15], v[14:15], v[56:57], v[28:29] neg_lo:[1,0,0] neg_hi:[1,0,0]
	v_pk_fma_f32 v[28:29], v[2:3], v[212:213], v[18:19] op_sel:[0,1,1] op_sel_hi:[1,1,0] neg_lo:[0,0,1] neg_hi:[0,0,1]
	v_pk_fma_f32 v[2:3], v[2:3], v[212:213], v[18:19] op_sel:[0,1,1] op_sel_hi:[1,1,0]
	v_pk_mul_f32 v[26:27], v[0:1], v[58:59] op_sel_hi:[1,0]
	v_mov_b32_e32 v29, v3
	v_pk_fma_f32 v[2:3], v[4:5], v[102:103], v[16:17] op_sel:[0,1,1] op_sel_hi:[1,1,0] neg_lo:[0,0,1] neg_hi:[0,0,1]
	v_pk_fma_f32 v[4:5], v[4:5], v[102:103], v[16:17] op_sel:[0,1,1] op_sel_hi:[1,1,0]
	v_pk_mul_f32 v[8:9], v[8:9], v[106:107]
	v_pk_mul_f32 v[24:25], v[6:7], v[104:105] op_sel_hi:[1,0]
	v_mov_b32_e32 v3, v5
	v_pk_fma_f32 v[4:5], v[0:1], v[212:213], v[26:27] op_sel:[0,0,1] op_sel_hi:[1,1,0] neg_lo:[0,0,1] neg_hi:[0,0,1]
	v_pk_fma_f32 v[0:1], v[0:1], v[212:213], v[26:27] op_sel:[0,0,1] op_sel_hi:[1,0,0]
	v_pk_mul_f32 v[10:11], v[10:11], v[56:57]
	v_mov_b32_e32 v9, 3
	v_mov_b32_e32 v5, v1
	v_pk_fma_f32 v[0:1], v[6:7], v[104:105], v[24:25] op_sel:[0,1,1] op_sel_hi:[1,1,0] neg_lo:[0,0,1] neg_hi:[0,0,1]
	v_pk_fma_f32 v[6:7], v[6:7], v[104:105], v[24:25] op_sel:[0,1,1] op_sel_hi:[1,1,0]
	v_lshlrev_b32_sdwa v32, v9, v175 dst_sel:DWORD dst_unused:UNUSED_PAD src0_sel:DWORD src1_sel:BYTE_0
	v_mov_b32_e32 v1, v7
	v_mov_b32_e32 v9, v28
	;; [unrolled: 1-line block ×5, first 2 shown]
	v_pk_add_f32 v[6:7], v[28:29], v[2:3]
	v_pk_add_f32 v[16:17], v[4:5], v[0:1]
	v_pk_add_f32 v[18:19], v[2:3], v[28:29] neg_lo:[0,1] neg_hi:[0,1]
	v_pk_add_f32 v[24:25], v[0:1], v[4:5] neg_lo:[0,1] neg_hi:[0,1]
	v_pk_add_f32 v[2:3], v[8:9], v[22:23]
	v_pk_add_f32 v[0:1], v[10:11], v[20:21]
	v_mov_b32_e32 v13, v2
	v_mov_b32_e32 v15, v0
	v_pk_add_f32 v[4:5], v[14:15], v[12:13] neg_lo:[0,1] neg_hi:[0,1]
	v_mov_b32_e32 v23, v19
	v_mov_b32_e32 v10, v4
	v_pk_add_f32 v[20:21], v[4:5], v[24:25]
	v_mov_b32_e32 v22, v4
	v_mov_b32_e32 v4, v24
	;; [unrolled: 1-line block ×3, first 2 shown]
	v_pk_add_f32 v[4:5], v[22:23], v[4:5] neg_lo:[0,1] neg_hi:[0,1]
	v_mov_b32_e32 v22, v17
	v_mov_b32_e32 v23, v14
	;; [unrolled: 1-line block ×4, first 2 shown]
	v_pk_add_f32 v[12:13], v[22:23], v[14:15]
	v_pk_add_f32 v[14:15], v[0:1], v[2:3]
	v_mov_b32_e32 v8, v18
	v_pk_add_f32 v[22:23], v[12:13], v[14:15]
	v_mov_b32_e32 v12, v7
	v_mov_b32_e32 v15, v1
	v_pk_add_f32 v[28:29], v[12:13], v[14:15] neg_lo:[0,1] neg_hi:[0,1]
	v_mov_b32_e32 v15, v3
	v_mov_b32_e32 v12, v17
	;; [unrolled: 1-line block ×3, first 2 shown]
	v_pk_add_f32 v[12:13], v[14:15], v[12:13] neg_lo:[0,1] neg_hi:[0,1]
	v_pk_add_f32 v[8:9], v[8:9], v[10:11] neg_lo:[0,1] neg_hi:[0,1]
	v_pk_mul_f32 v[4:5], v[4:5], s[4:5]
	v_pk_add_f32 v[26:27], v[100:101], v[22:23]
	v_pk_mul_f32 v[12:13], v[12:13], s[20:21]
	s_mov_b32 s2, 0xbf955555
	v_pk_mul_f32 v[10:11], v[8:9], s[18:19]
	v_pk_add_f32 v[20:21], v[20:21], v[18:19]
	v_pk_fma_f32 v[8:9], v[8:9], s[18:19], v[4:5]
	v_pk_fma_f32 v[14:15], v[28:29], s[22:23], v[12:13]
	v_pk_fma_f32 v[22:23], v[22:23], s[2:3], v[26:27] op_sel_hi:[1,0,1]
	v_pk_fma_f32 v[8:9], v[20:21], s[0:1], v[8:9] op_sel_hi:[1,0,1]
	v_pk_add_f32 v[14:15], v[14:15], v[22:23]
	v_pk_mul_f32 v[30:31], v[28:29], s[22:23]
	v_pk_add_f32 v[28:29], v[14:15], v[8:9]
	v_pk_add_f32 v[8:9], v[14:15], v[8:9] neg_lo:[0,1] neg_hi:[0,1]
	v_mov_b32_e32 v14, v28
	v_mov_b32_e32 v15, v9
	v_add_u32_e32 v9, 0x2000, v32
	v_mov_b32_e32 v0, v17
	v_mov_b32_e32 v2, v7
	ds_write2_b64 v9, v[26:27], v[14:15] offset0:96 offset1:136
	v_pk_add_f32 v[14:15], v[24:25], v[18:19] neg_lo:[0,1] neg_hi:[0,1]
	v_mov_b32_e32 v18, v10
	v_mov_b32_e32 v19, v5
	v_pk_add_f32 v[0:1], v[0:1], v[2:3] neg_lo:[0,1] neg_hi:[0,1]
	v_mov_b32_e32 v2, v30
	v_mov_b32_e32 v3, v13
	;; [unrolled: 1-line block ×4, first 2 shown]
	v_pk_fma_f32 v[18:19], v[14:15], s[14:15], v[18:19] op_sel_hi:[1,0,1] neg_lo:[1,0,1] neg_hi:[1,0,1]
	v_pk_fma_f32 v[2:3], v[0:1], s[16:17], v[2:3] op_sel_hi:[1,0,1] neg_lo:[1,0,1] neg_hi:[1,0,1]
	;; [unrolled: 1-line block ×4, first 2 shown]
	v_pk_fma_f32 v[18:19], v[20:21], s[0:1], v[18:19] op_sel_hi:[1,0,1]
	v_pk_add_f32 v[2:3], v[2:3], v[22:23]
	v_pk_fma_f32 v[4:5], v[20:21], s[0:1], v[4:5] op_sel_hi:[1,0,1]
	v_pk_add_f32 v[0:1], v[0:1], v[22:23]
	v_pk_add_f32 v[6:7], v[2:3], v[18:19]
	v_pk_add_f32 v[2:3], v[2:3], v[18:19] neg_lo:[0,1] neg_hi:[0,1]
	v_pk_add_f32 v[10:11], v[0:1], v[4:5] neg_lo:[0,1] neg_hi:[0,1]
	v_pk_add_f32 v[0:1], v[0:1], v[4:5]
	v_mov_b32_e32 v16, v6
	v_mov_b32_e32 v17, v3
	;; [unrolled: 1-line block ×4, first 2 shown]
	ds_write2_b64 v9, v[16:17], v[4:5] offset0:176 offset1:216
	v_mov_b32_e32 v1, v11
	v_mov_b32_e32 v3, v7
	v_add_u32_e32 v4, 0x2800, v32
	v_mov_b32_e32 v9, v29
	ds_write2_b64 v4, v[0:1], v[2:3] offset1:40
	ds_write_b64 v32, v[8:9] offset:10880
.LBB0_39:
	s_or_b64 exec, exec, s[24:25]
	v_add_u32_e32 v12, 0x400, v152
	s_waitcnt lgkmcnt(0)
	; wave barrier
	s_waitcnt lgkmcnt(0)
	ds_read2_b64 v[0:3], v12 offset0:96 offset1:152
	v_add_u32_e32 v9, 0x1000, v152
	ds_read2_b64 v[18:21], v9 offset0:48 offset1:104
	v_add_u32_e32 v11, 0x1800, v152
	;; [unrolled: 2-line block ×3, first 2 shown]
	s_waitcnt lgkmcnt(2)
	v_pk_mul_f32 v[30:31], v[96:97], v[2:3]
	ds_read2_b64 v[26:29], v10 offset0:96 offset1:152
	v_pk_fma_f32 v[38:39], v[236:237], v[2:3], v[30:31] op_sel:[0,0,1] op_sel_hi:[1,1,0]
	v_pk_fma_f32 v[2:3], v[236:237], v[2:3], v[30:31] op_sel:[0,0,1] op_sel_hi:[1,1,0] neg_lo:[0,0,1] neg_hi:[0,0,1]
	ds_read2_b64 v[14:17], v152 offset1:56
	v_mov_b32_e32 v39, v3
	s_waitcnt lgkmcnt(3)
	v_pk_mul_f32 v[2:3], v[98:99], v[18:19]
	ds_read2_b64 v[30:33], v11 offset0:128 offset1:184
	v_pk_fma_f32 v[40:41], v[234:235], v[18:19], v[2:3] op_sel:[0,0,1] op_sel_hi:[1,1,0]
	v_pk_fma_f32 v[2:3], v[234:235], v[18:19], v[2:3] op_sel:[0,0,1] op_sel_hi:[1,1,0] neg_lo:[0,0,1] neg_hi:[0,0,1]
	s_waitcnt lgkmcnt(1)
	v_pk_add_f32 v[18:19], v[14:15], v[38:39]
	v_mov_b32_e32 v41, v3
	v_pk_mul_f32 v[2:3], v[92:93], v[24:25]
	v_pk_add_f32 v[18:19], v[18:19], v[40:41]
	v_pk_fma_f32 v[42:43], v[232:233], v[24:25], v[2:3] op_sel:[0,0,1] op_sel_hi:[1,1,0]
	v_pk_fma_f32 v[2:3], v[232:233], v[24:25], v[2:3] op_sel:[0,0,1] op_sel_hi:[1,1,0] neg_lo:[0,0,1] neg_hi:[0,0,1]
	v_mad_u64_u32 v[6:7], s[0:1], s10, v178, 0
	v_mov_b32_e32 v43, v3
	v_pk_mul_f32 v[2:3], v[94:95], v[26:27]
	v_pk_add_f32 v[18:19], v[18:19], v[42:43]
	v_pk_fma_f32 v[44:45], v[230:231], v[26:27], v[2:3] op_sel:[0,0,1] op_sel_hi:[1,1,0]
	v_pk_fma_f32 v[2:3], v[230:231], v[26:27], v[2:3] op_sel:[0,0,1] op_sel_hi:[1,1,0] neg_lo:[0,0,1] neg_hi:[0,0,1]
	v_mov_b32_e32 v8, v7
	v_mov_b32_e32 v45, v3
	v_add_u32_e32 v3, 0x800, v152
	ds_read2_b64 v[24:27], v3 offset0:80 offset1:136
	v_pk_add_f32 v[46:47], v[18:19], v[44:45]
	v_add_u32_e32 v2, 0x2400, v152
	v_add_u32_e32 v7, 0x1c00, v152
	s_mov_b32 s2, 0x3f737871
	s_waitcnt lgkmcnt(0)
	v_pk_mul_f32 v[18:19], v[88:89], v[24:25]
	s_mov_b32 s4, 0x3f167918
	v_pk_fma_f32 v[48:49], v[228:229], v[24:25], v[18:19] op_sel:[0,0,1] op_sel_hi:[1,1,0]
	v_pk_fma_f32 v[18:19], v[228:229], v[24:25], v[18:19] op_sel:[0,0,1] op_sel_hi:[1,1,0] neg_lo:[0,0,1] neg_hi:[0,0,1]
	v_pk_mul_f32 v[24:25], v[72:73], v[26:27]
	v_mov_b32_e32 v49, v19
	v_pk_mul_f32 v[18:19], v[90:91], v[20:21]
	v_pk_fma_f32 v[58:59], v[220:221], v[26:27], v[24:25] op_sel:[0,0,1] op_sel_hi:[1,1,0]
	v_pk_fma_f32 v[50:51], v[226:227], v[20:21], v[18:19] op_sel:[0,0,1] op_sel_hi:[1,1,0]
	v_pk_fma_f32 v[18:19], v[226:227], v[20:21], v[18:19] op_sel:[0,0,1] op_sel_hi:[1,1,0] neg_lo:[0,0,1] neg_hi:[0,0,1]
	v_pk_fma_f32 v[24:25], v[220:221], v[26:27], v[24:25] op_sel:[0,0,1] op_sel_hi:[1,1,0] neg_lo:[0,0,1] neg_hi:[0,0,1]
	v_mov_b32_e32 v51, v19
	v_pk_mul_f32 v[18:19], v[80:81], v[30:31]
	v_mov_b32_e32 v59, v25
	v_pk_fma_f32 v[52:53], v[224:225], v[30:31], v[18:19] op_sel:[0,0,1] op_sel_hi:[1,1,0]
	v_pk_fma_f32 v[18:19], v[224:225], v[30:31], v[18:19] op_sel:[0,0,1] op_sel_hi:[1,1,0] neg_lo:[0,0,1] neg_hi:[0,0,1]
	s_mov_b32 s0, 0x3e9e377a
	v_mov_b32_e32 v53, v19
	v_pk_mul_f32 v[18:19], v[82:83], v[28:29]
	v_pk_add_f32 v[82:83], v[38:39], v[40:41] neg_lo:[0,1] neg_hi:[0,1]
	v_pk_fma_f32 v[54:55], v[222:223], v[28:29], v[18:19] op_sel:[0,0,1] op_sel_hi:[1,1,0]
	v_pk_fma_f32 v[18:19], v[222:223], v[28:29], v[18:19] op_sel:[0,0,1] op_sel_hi:[1,1,0] neg_lo:[0,0,1] neg_hi:[0,0,1]
	v_mov_b32_e32 v4, s12
	v_mov_b32_e32 v55, v19
	v_pk_add_f32 v[18:19], v[16:17], v[48:49]
	v_mov_b32_e32 v5, s13
	v_pk_add_f32 v[18:19], v[18:19], v[50:51]
	s_movk_i32 s14, 0x2000
	v_pk_add_f32 v[18:19], v[18:19], v[52:53]
	s_nop 0
	v_pk_add_f32 v[56:57], v[18:19], v[54:55]
	ds_read2_b64 v[18:21], v152 offset0:112 offset1:168
	ds_read2_b64 v[28:31], v9 offset0:160 offset1:216
	;; [unrolled: 1-line block ×3, first 2 shown]
	s_waitcnt lgkmcnt(1)
	v_pk_mul_f32 v[24:25], v[74:75], v[28:29]
	s_nop 0
	v_pk_fma_f32 v[72:73], v[218:219], v[28:29], v[24:25] op_sel:[0,0,1] op_sel_hi:[1,1,0]
	v_pk_fma_f32 v[24:25], v[218:219], v[28:29], v[24:25] op_sel:[0,0,1] op_sel_hi:[1,1,0] neg_lo:[0,0,1] neg_hi:[0,0,1]
	s_nop 0
	v_mov_b32_e32 v73, v25
	v_pk_mul_f32 v[24:25], v[68:69], v[32:33]
	s_nop 0
	v_pk_fma_f32 v[28:29], v[216:217], v[32:33], v[24:25] op_sel:[0,0,1] op_sel_hi:[1,1,0]
	v_pk_fma_f32 v[24:25], v[216:217], v[32:33], v[24:25] op_sel:[0,0,1] op_sel_hi:[1,1,0] neg_lo:[0,0,1] neg_hi:[0,0,1]
	s_nop 0
	v_mov_b32_e32 v29, v25
	s_waitcnt lgkmcnt(0)
	v_pk_mul_f32 v[24:25], v[70:71], v[34:35]
	s_nop 0
	v_pk_fma_f32 v[68:69], v[214:215], v[34:35], v[24:25] op_sel:[0,0,1] op_sel_hi:[1,1,0]
	v_pk_fma_f32 v[24:25], v[214:215], v[34:35], v[24:25] op_sel:[0,0,1] op_sel_hi:[1,1,0] neg_lo:[0,0,1] neg_hi:[0,0,1]
	s_nop 0
	v_mov_b32_e32 v69, v25
	v_pk_add_f32 v[24:25], v[18:19], v[58:59]
	s_nop 0
	v_pk_add_f32 v[32:33], v[24:25], v[72:73]
	ds_read2_b64 v[24:27], v3 offset0:192 offset1:248
	v_pk_add_f32 v[32:33], v[32:33], v[28:29]
	s_waitcnt lgkmcnt(0)
	v_pk_mul_f32 v[64:65], v[64:65], v[24:25]
	v_pk_add_f32 v[70:71], v[32:33], v[68:69]
	ds_read2_b64 v[32:35], v7 offset0:112 offset1:168
	v_pk_fma_f32 v[74:75], v[210:211], v[24:25], v[64:65] op_sel:[0,0,1] op_sel_hi:[1,1,0]
	v_pk_fma_f32 v[24:25], v[210:211], v[24:25], v[64:65] op_sel:[0,0,1] op_sel_hi:[1,1,0] neg_lo:[0,0,1] neg_hi:[0,0,1]
	s_nop 0
	v_mov_b32_e32 v75, v25
	v_pk_mul_f32 v[24:25], v[66:67], v[30:31]
	v_pk_add_f32 v[66:67], v[38:39], v[44:45] neg_lo:[0,1] neg_hi:[0,1]
	v_pk_fma_f32 v[64:65], v[208:209], v[30:31], v[24:25] op_sel:[0,0,1] op_sel_hi:[1,1,0]
	v_pk_fma_f32 v[24:25], v[208:209], v[30:31], v[24:25] op_sel:[0,0,1] op_sel_hi:[1,1,0] neg_lo:[0,0,1] neg_hi:[0,0,1]
	s_nop 0
	v_mov_b32_e32 v65, v25
	s_waitcnt lgkmcnt(0)
	v_pk_mul_f32 v[24:25], v[60:61], v[32:33]
	v_pk_mul_f32 v[60:61], v[84:85], v[26:27]
	v_pk_fma_f32 v[30:31], v[150:151], v[32:33], v[24:25] op_sel:[0,0,1] op_sel_hi:[1,1,0]
	v_pk_fma_f32 v[24:25], v[150:151], v[32:33], v[24:25] op_sel:[0,0,1] op_sel_hi:[1,1,0] neg_lo:[0,0,1] neg_hi:[0,0,1]
	v_pk_add_f32 v[84:85], v[44:45], v[42:43] neg_lo:[0,1] neg_hi:[0,1]
	v_mov_b32_e32 v31, v25
	v_pk_mul_f32 v[24:25], v[62:63], v[36:37]
	v_pk_fma_f32 v[62:63], v[146:147], v[26:27], v[60:61] op_sel:[0,0,1] op_sel_hi:[1,1,0]
	v_pk_fma_f32 v[32:33], v[148:149], v[36:37], v[24:25] op_sel:[0,0,1] op_sel_hi:[1,1,0]
	v_pk_fma_f32 v[24:25], v[148:149], v[36:37], v[24:25] op_sel:[0,0,1] op_sel_hi:[1,1,0] neg_lo:[0,0,1] neg_hi:[0,0,1]
	ds_read_b64 v[36:37], v152 offset:10752
	v_pk_fma_f32 v[26:27], v[146:147], v[26:27], v[60:61] op_sel:[0,0,1] op_sel_hi:[1,1,0] neg_lo:[0,0,1] neg_hi:[0,0,1]
	v_pk_add_f32 v[82:83], v[82:83], v[84:85]
	v_mov_b32_e32 v63, v27
	v_pk_mul_f32 v[26:27], v[86:87], v[22:23]
	v_mov_b32_e32 v33, v25
	v_pk_fma_f32 v[60:61], v[144:145], v[22:23], v[26:27] op_sel:[0,0,1] op_sel_hi:[1,1,0]
	v_pk_fma_f32 v[22:23], v[144:145], v[22:23], v[26:27] op_sel:[0,0,1] op_sel_hi:[1,1,0] neg_lo:[0,0,1] neg_hi:[0,0,1]
	v_pk_add_f32 v[24:25], v[20:21], v[74:75]
	v_mov_b32_e32 v61, v23
	v_pk_mul_f32 v[22:23], v[76:77], v[34:35]
	v_pk_mul_f32 v[76:77], v[66:67], s[2:3] op_sel_hi:[1,0]
	v_pk_fma_f32 v[26:27], v[142:143], v[34:35], v[22:23] op_sel:[0,0,1] op_sel_hi:[1,1,0]
	v_pk_fma_f32 v[22:23], v[142:143], v[34:35], v[22:23] op_sel:[0,0,1] op_sel_hi:[1,1,0] neg_lo:[0,0,1] neg_hi:[0,0,1]
	v_pk_add_f32 v[24:25], v[24:25], v[64:65]
	v_mov_b32_e32 v27, v23
	s_waitcnt lgkmcnt(0)
	v_pk_mul_f32 v[22:23], v[78:79], v[36:37]
	v_pk_add_f32 v[78:79], v[40:41], v[42:43] neg_lo:[0,1] neg_hi:[0,1]
	v_pk_fma_f32 v[34:35], v[140:141], v[36:37], v[22:23] op_sel:[0,0,1] op_sel_hi:[1,1,0]
	v_pk_fma_f32 v[22:23], v[140:141], v[36:37], v[22:23] op_sel:[0,0,1] op_sel_hi:[1,1,0] neg_lo:[0,0,1] neg_hi:[0,0,1]
	v_pk_add_f32 v[36:37], v[40:41], v[42:43]
	v_pk_mul_f32 v[80:81], v[78:79], s[4:5] op_sel_hi:[1,0]
	v_pk_fma_f32 v[36:37], v[36:37], 0.5, v[14:15] op_sel_hi:[1,0,1] neg_lo:[1,0,0] neg_hi:[1,0,0]
	v_pk_add_f32 v[24:25], v[24:25], v[30:31]
	v_pk_add_f32 v[84:85], v[36:37], v[76:77] op_sel:[0,1] op_sel_hi:[1,0] neg_lo:[0,1] neg_hi:[0,1]
	v_pk_add_f32 v[36:37], v[36:37], v[76:77] op_sel:[0,1] op_sel_hi:[1,0]
	v_pk_add_f32 v[76:77], v[84:85], v[80:81] op_sel:[0,1] op_sel_hi:[1,0] neg_lo:[0,1] neg_hi:[0,1]
	v_pk_add_f32 v[36:37], v[36:37], v[80:81] op_sel:[0,1] op_sel_hi:[1,0]
	v_mov_b32_e32 v80, v76
	v_mov_b32_e32 v81, v37
	;; [unrolled: 1-line block ×3, first 2 shown]
	v_pk_fma_f32 v[36:37], v[82:83], s[0:1], v[36:37] op_sel_hi:[1,0,1]
	v_pk_fma_f32 v[80:81], v[82:83], s[0:1], v[80:81] op_sel_hi:[1,0,1]
	ds_write_b64 v152, v[36:37] offset:8960
	ds_write_b64 v152, v[80:81] offset:2240
	v_pk_add_f32 v[36:37], v[38:39], v[44:45]
	v_pk_add_f32 v[24:25], v[24:25], v[32:33]
	v_pk_fma_f32 v[14:15], v[36:37], 0.5, v[14:15] op_sel_hi:[1,0,1] neg_lo:[1,0,0] neg_hi:[1,0,0]
	v_pk_add_f32 v[36:37], v[40:41], v[38:39] neg_lo:[0,1] neg_hi:[0,1]
	v_pk_add_f32 v[38:39], v[42:43], v[44:45] neg_lo:[0,1] neg_hi:[0,1]
	v_pk_mul_f32 v[40:41], v[66:67], s[4:5] op_sel_hi:[1,0]
	v_pk_add_f32 v[36:37], v[36:37], v[38:39]
	v_pk_mul_f32 v[38:39], v[78:79], s[2:3] op_sel_hi:[1,0]
	v_pk_add_f32 v[44:45], v[48:49], v[50:51] neg_lo:[0,1] neg_hi:[0,1]
	v_pk_add_f32 v[42:43], v[14:15], v[38:39] op_sel:[0,1] op_sel_hi:[1,0]
	v_pk_add_f32 v[14:15], v[14:15], v[38:39] op_sel:[0,1] op_sel_hi:[1,0] neg_lo:[0,1] neg_hi:[0,1]
	v_pk_add_f32 v[38:39], v[42:43], v[40:41] op_sel:[0,1] op_sel_hi:[1,0] neg_lo:[0,1] neg_hi:[0,1]
	v_pk_add_f32 v[14:15], v[14:15], v[40:41] op_sel:[0,1] op_sel_hi:[1,0]
	v_mov_b32_e32 v40, v38
	v_mov_b32_e32 v41, v15
	v_mov_b32_e32 v15, v39
	v_pk_fma_f32 v[14:15], v[36:37], s[0:1], v[14:15] op_sel_hi:[1,0,1]
	v_pk_fma_f32 v[40:41], v[36:37], s[0:1], v[40:41] op_sel_hi:[1,0,1]
	ds_write_b64 v152, v[14:15] offset:6720
	ds_write_b64 v152, v[40:41] offset:4480
	ds_write2_b64 v152, v[46:47], v[56:57] offset1:56
	v_pk_add_f32 v[14:15], v[50:51], v[52:53]
	v_pk_add_f32 v[36:37], v[48:49], v[54:55] neg_lo:[0,1] neg_hi:[0,1]
	v_pk_fma_f32 v[14:15], v[14:15], 0.5, v[16:17] op_sel_hi:[1,0,1] neg_lo:[1,0,0] neg_hi:[1,0,0]
	v_pk_mul_f32 v[38:39], v[36:37], s[2:3] op_sel_hi:[1,0]
	v_pk_add_f32 v[40:41], v[50:51], v[52:53] neg_lo:[0,1] neg_hi:[0,1]
	v_pk_add_f32 v[46:47], v[54:55], v[52:53] neg_lo:[0,1] neg_hi:[0,1]
	v_pk_mul_f32 v[42:43], v[40:41], s[4:5] op_sel_hi:[1,0]
	v_pk_add_f32 v[44:45], v[44:45], v[46:47]
	v_pk_add_f32 v[46:47], v[14:15], v[38:39] op_sel:[0,1] op_sel_hi:[1,0] neg_lo:[0,1] neg_hi:[0,1]
	v_pk_add_f32 v[14:15], v[14:15], v[38:39] op_sel:[0,1] op_sel_hi:[1,0]
	v_pk_add_f32 v[38:39], v[46:47], v[42:43] op_sel:[0,1] op_sel_hi:[1,0] neg_lo:[0,1] neg_hi:[0,1]
	v_pk_add_f32 v[14:15], v[14:15], v[42:43] op_sel:[0,1] op_sel_hi:[1,0]
	v_mov_b32_e32 v42, v38
	v_mov_b32_e32 v43, v15
	v_mov_b32_e32 v15, v39
	v_pk_add_f32 v[38:39], v[48:49], v[54:55]
	v_pk_fma_f32 v[42:43], v[44:45], s[0:1], v[42:43] op_sel_hi:[1,0,1]
	v_pk_fma_f32 v[14:15], v[44:45], s[0:1], v[14:15] op_sel_hi:[1,0,1]
	v_pk_fma_f32 v[16:17], v[38:39], 0.5, v[16:17] op_sel_hi:[1,0,1] neg_lo:[1,0,0] neg_hi:[1,0,0]
	v_pk_add_f32 v[38:39], v[50:51], v[48:49] neg_lo:[0,1] neg_hi:[0,1]
	v_pk_add_f32 v[44:45], v[52:53], v[54:55] neg_lo:[0,1] neg_hi:[0,1]
	v_pk_mul_f32 v[40:41], v[40:41], s[2:3] op_sel_hi:[1,0]
	v_pk_add_f32 v[38:39], v[38:39], v[44:45]
	v_pk_mul_f32 v[36:37], v[36:37], s[4:5] op_sel_hi:[1,0]
	v_pk_add_f32 v[44:45], v[16:17], v[40:41] op_sel:[0,1] op_sel_hi:[1,0]
	v_pk_add_f32 v[16:17], v[16:17], v[40:41] op_sel:[0,1] op_sel_hi:[1,0] neg_lo:[0,1] neg_hi:[0,1]
	v_pk_add_f32 v[46:47], v[72:73], v[28:29] neg_lo:[0,1] neg_hi:[0,1]
	v_pk_add_f32 v[16:17], v[16:17], v[36:37] op_sel:[0,1] op_sel_hi:[1,0]
	v_pk_add_f32 v[36:37], v[44:45], v[36:37] op_sel:[0,1] op_sel_hi:[1,0] neg_lo:[0,1] neg_hi:[0,1]
	v_mov_b32_e32 v41, v17
	v_mov_b32_e32 v40, v36
	;; [unrolled: 1-line block ×3, first 2 shown]
	v_pk_fma_f32 v[40:41], v[38:39], s[0:1], v[40:41] op_sel_hi:[1,0,1]
	v_pk_fma_f32 v[16:17], v[38:39], s[0:1], v[16:17] op_sel_hi:[1,0,1]
	v_pk_add_f32 v[36:37], v[72:73], v[28:29]
	v_pk_add_f32 v[38:39], v[58:59], v[68:69] neg_lo:[0,1] neg_hi:[0,1]
	v_pk_fma_f32 v[36:37], v[36:37], 0.5, v[18:19] op_sel_hi:[1,0,1] neg_lo:[1,0,0] neg_hi:[1,0,0]
	v_pk_mul_f32 v[44:45], v[38:39], s[2:3] op_sel_hi:[1,0]
	v_pk_add_f32 v[50:51], v[58:59], v[72:73] neg_lo:[0,1] neg_hi:[0,1]
	v_pk_add_f32 v[52:53], v[68:69], v[28:29] neg_lo:[0,1] neg_hi:[0,1]
	v_pk_mul_f32 v[48:49], v[46:47], s[4:5] op_sel_hi:[1,0]
	v_pk_add_f32 v[50:51], v[50:51], v[52:53]
	v_pk_add_f32 v[52:53], v[36:37], v[44:45] op_sel:[0,1] op_sel_hi:[1,0] neg_lo:[0,1] neg_hi:[0,1]
	v_pk_add_f32 v[36:37], v[36:37], v[44:45] op_sel:[0,1] op_sel_hi:[1,0]
	v_pk_add_f32 v[44:45], v[52:53], v[48:49] op_sel:[0,1] op_sel_hi:[1,0] neg_lo:[0,1] neg_hi:[0,1]
	v_pk_add_f32 v[36:37], v[36:37], v[48:49] op_sel:[0,1] op_sel_hi:[1,0]
	v_mov_b32_e32 v48, v44
	v_mov_b32_e32 v49, v37
	v_pk_fma_f32 v[48:49], v[50:51], s[0:1], v[48:49] op_sel_hi:[1,0,1]
	ds_write2_b64 v3, v[42:43], v[48:49] offset0:80 offset1:136
	v_pk_add_f32 v[42:43], v[58:59], v[68:69]
	v_pk_add_f32 v[28:29], v[28:29], v[68:69] neg_lo:[0,1] neg_hi:[0,1]
	v_pk_fma_f32 v[18:19], v[42:43], 0.5, v[18:19] op_sel_hi:[1,0,1] neg_lo:[1,0,0] neg_hi:[1,0,0]
	v_pk_add_f32 v[42:43], v[72:73], v[58:59] neg_lo:[0,1] neg_hi:[0,1]
	v_pk_mul_f32 v[38:39], v[38:39], s[4:5] op_sel_hi:[1,0]
	v_pk_add_f32 v[28:29], v[42:43], v[28:29]
	v_pk_mul_f32 v[42:43], v[46:47], s[2:3] op_sel_hi:[1,0]
	v_mov_b32_e32 v37, v45
	v_pk_add_f32 v[46:47], v[18:19], v[42:43] op_sel:[0,1] op_sel_hi:[1,0]
	v_pk_add_f32 v[18:19], v[18:19], v[42:43] op_sel:[0,1] op_sel_hi:[1,0] neg_lo:[0,1] neg_hi:[0,1]
	v_mov_b32_e32 v35, v23
	v_pk_add_f32 v[18:19], v[18:19], v[38:39] op_sel:[0,1] op_sel_hi:[1,0]
	v_pk_add_f32 v[38:39], v[46:47], v[38:39] op_sel:[0,1] op_sel_hi:[1,0] neg_lo:[0,1] neg_hi:[0,1]
	v_mov_b32_e32 v43, v19
	v_mov_b32_e32 v19, v39
	;; [unrolled: 1-line block ×3, first 2 shown]
	v_pk_fma_f32 v[18:19], v[28:29], s[0:1], v[18:19] op_sel_hi:[1,0,1]
	v_pk_fma_f32 v[42:43], v[28:29], s[0:1], v[42:43] op_sel_hi:[1,0,1]
	ds_write2_b64 v11, v[16:17], v[18:19] offset0:128 offset1:184
	v_pk_fma_f32 v[16:17], v[50:51], s[0:1], v[36:37] op_sel_hi:[1,0,1]
	ds_write2_b64 v9, v[40:41], v[42:43] offset0:104 offset1:160
	ds_write2_b64 v10, v[14:15], v[16:17] offset0:152 offset1:208
	;; [unrolled: 1-line block ×3, first 2 shown]
	v_pk_add_f32 v[14:15], v[64:65], v[30:31]
	v_pk_add_f32 v[16:17], v[74:75], v[32:33] neg_lo:[0,1] neg_hi:[0,1]
	v_pk_fma_f32 v[14:15], v[14:15], 0.5, v[20:21] op_sel_hi:[1,0,1] neg_lo:[1,0,0] neg_hi:[1,0,0]
	v_pk_mul_f32 v[18:19], v[16:17], s[2:3] op_sel_hi:[1,0]
	v_pk_add_f32 v[24:25], v[64:65], v[30:31] neg_lo:[0,1] neg_hi:[0,1]
	v_pk_add_f32 v[36:37], v[74:75], v[64:65] neg_lo:[0,1] neg_hi:[0,1]
	;; [unrolled: 1-line block ×3, first 2 shown]
	v_pk_mul_f32 v[28:29], v[24:25], s[4:5] op_sel_hi:[1,0]
	v_pk_add_f32 v[36:37], v[36:37], v[38:39]
	v_pk_add_f32 v[38:39], v[14:15], v[18:19] op_sel:[0,1] op_sel_hi:[1,0] neg_lo:[0,1] neg_hi:[0,1]
	v_pk_add_f32 v[14:15], v[14:15], v[18:19] op_sel:[0,1] op_sel_hi:[1,0]
	v_pk_add_f32 v[18:19], v[38:39], v[28:29] op_sel:[0,1] op_sel_hi:[1,0] neg_lo:[0,1] neg_hi:[0,1]
	v_pk_add_f32 v[38:39], v[74:75], v[32:33]
	v_pk_mul_f32 v[24:25], v[24:25], s[2:3] op_sel_hi:[1,0]
	v_pk_fma_f32 v[20:21], v[38:39], 0.5, v[20:21] op_sel_hi:[1,0,1] neg_lo:[1,0,0] neg_hi:[1,0,0]
	v_pk_add_f32 v[30:31], v[30:31], v[32:33] neg_lo:[0,1] neg_hi:[0,1]
	v_pk_mul_f32 v[16:17], v[16:17], s[4:5] op_sel_hi:[1,0]
	v_pk_add_f32 v[32:33], v[20:21], v[24:25] op_sel:[0,1] op_sel_hi:[1,0]
	v_pk_add_f32 v[20:21], v[20:21], v[24:25] op_sel:[0,1] op_sel_hi:[1,0] neg_lo:[0,1] neg_hi:[0,1]
	v_pk_add_f32 v[22:23], v[0:1], v[62:63]
	v_pk_add_f32 v[14:15], v[14:15], v[28:29] op_sel:[0,1] op_sel_hi:[1,0]
	v_pk_add_f32 v[38:39], v[64:65], v[74:75] neg_lo:[0,1] neg_hi:[0,1]
	v_pk_add_f32 v[20:21], v[20:21], v[16:17] op_sel:[0,1] op_sel_hi:[1,0]
	v_pk_add_f32 v[16:17], v[32:33], v[16:17] op_sel:[0,1] op_sel_hi:[1,0] neg_lo:[0,1] neg_hi:[0,1]
	v_pk_add_f32 v[22:23], v[22:23], v[60:61]
	v_mov_b32_e32 v29, v15
	v_pk_add_f32 v[30:31], v[38:39], v[30:31]
	v_mov_b32_e32 v24, v16
	v_mov_b32_e32 v25, v21
	;; [unrolled: 1-line block ×4, first 2 shown]
	v_pk_add_f32 v[22:23], v[22:23], v[26:27]
	v_pk_fma_f32 v[24:25], v[30:31], s[0:1], v[24:25] op_sel_hi:[1,0,1]
	v_pk_fma_f32 v[16:17], v[30:31], s[0:1], v[20:21] op_sel_hi:[1,0,1]
	;; [unrolled: 1-line block ×3, first 2 shown]
	v_pk_add_f32 v[22:23], v[22:23], v[34:35]
	ds_write_b64 v152, v[24:25] offset:5824
	ds_write_b64 v152, v[16:17] offset:8064
	;; [unrolled: 1-line block ×4, first 2 shown]
	v_pk_add_f32 v[14:15], v[60:61], v[26:27]
	v_pk_add_f32 v[16:17], v[62:63], v[34:35] neg_lo:[0,1] neg_hi:[0,1]
	v_mov_b32_e32 v28, v18
	v_pk_fma_f32 v[14:15], v[14:15], 0.5, v[0:1] op_sel_hi:[1,0,1] neg_lo:[1,0,0] neg_hi:[1,0,0]
	v_pk_mul_f32 v[18:19], v[16:17], s[2:3] op_sel_hi:[1,0]
	v_pk_add_f32 v[20:21], v[60:61], v[26:27] neg_lo:[0,1] neg_hi:[0,1]
	v_pk_add_f32 v[24:25], v[62:63], v[60:61] neg_lo:[0,1] neg_hi:[0,1]
	;; [unrolled: 1-line block ×3, first 2 shown]
	v_pk_mul_f32 v[22:23], v[20:21], s[4:5] op_sel_hi:[1,0]
	v_pk_add_f32 v[24:25], v[24:25], v[30:31]
	v_pk_add_f32 v[30:31], v[14:15], v[18:19] op_sel:[0,1] op_sel_hi:[1,0] neg_lo:[0,1] neg_hi:[0,1]
	v_pk_add_f32 v[14:15], v[14:15], v[18:19] op_sel:[0,1] op_sel_hi:[1,0]
	v_pk_add_f32 v[18:19], v[30:31], v[22:23] op_sel:[0,1] op_sel_hi:[1,0] neg_lo:[0,1] neg_hi:[0,1]
	v_pk_add_f32 v[14:15], v[14:15], v[22:23] op_sel:[0,1] op_sel_hi:[1,0]
	v_mov_b32_e32 v22, v18
	v_mov_b32_e32 v23, v15
	v_pk_fma_f32 v[28:29], v[36:37], s[0:1], v[28:29] op_sel_hi:[1,0,1]
	v_pk_fma_f32 v[22:23], v[24:25], s[0:1], v[22:23] op_sel_hi:[1,0,1]
	ds_write2_b64 v3, v[28:29], v[22:23] offset0:192 offset1:248
	v_pk_add_f32 v[22:23], v[62:63], v[34:35]
	v_pk_add_f32 v[26:27], v[26:27], v[34:35] neg_lo:[0,1] neg_hi:[0,1]
	v_pk_fma_f32 v[0:1], v[22:23], 0.5, v[0:1] op_sel_hi:[1,0,1] neg_lo:[1,0,0] neg_hi:[1,0,0]
	v_pk_add_f32 v[22:23], v[60:61], v[62:63] neg_lo:[0,1] neg_hi:[0,1]
	v_pk_mul_f32 v[20:21], v[20:21], s[2:3] op_sel_hi:[1,0]
	v_pk_add_f32 v[22:23], v[22:23], v[26:27]
	v_pk_mul_f32 v[16:17], v[16:17], s[4:5] op_sel_hi:[1,0]
	v_pk_add_f32 v[26:27], v[0:1], v[20:21] op_sel:[0,1] op_sel_hi:[1,0]
	v_pk_add_f32 v[0:1], v[0:1], v[20:21] op_sel:[0,1] op_sel_hi:[1,0] neg_lo:[0,1] neg_hi:[0,1]
	v_mov_b32_e32 v15, v19
	v_pk_add_f32 v[0:1], v[0:1], v[16:17] op_sel:[0,1] op_sel_hi:[1,0]
	v_pk_add_f32 v[16:17], v[26:27], v[16:17] op_sel:[0,1] op_sel_hi:[1,0] neg_lo:[0,1] neg_hi:[0,1]
	v_mov_b32_e32 v21, v1
	v_mov_b32_e32 v1, v17
	v_mov_b32_e32 v20, v16
	v_pk_fma_f32 v[0:1], v[22:23], s[0:1], v[0:1] op_sel_hi:[1,0,1]
	v_pk_fma_f32 v[20:21], v[22:23], s[0:1], v[20:21] op_sel_hi:[1,0,1]
	ds_write_b64 v152, v[0:1] offset:8512
	v_pk_fma_f32 v[0:1], v[24:25], s[0:1], v[14:15] op_sel_hi:[1,0,1]
	ds_write_b64 v152, v[20:21] offset:6272
	ds_write_b64 v152, v[0:1] offset:10752
	s_waitcnt lgkmcnt(0)
	; wave barrier
	s_waitcnt lgkmcnt(0)
	ds_read2_b64 v[14:17], v152 offset1:56
	v_accvgpr_read_b32 v18, a40
	v_mad_u64_u32 v[0:1], s[0:1], s11, v178, v[8:9]
	v_accvgpr_read_b32 v19, a41
	v_mov_b32_e32 v7, v0
	s_waitcnt lgkmcnt(0)
	v_mul_f32_e32 v0, v19, v15
	v_fmac_f32_e32 v0, v18, v14
	s_mov_b32 s0, 0xe434a9b1
	v_cvt_f64_f32_e32 v[0:1], v0
	s_mov_b32 s1, 0x3f4767dc
	v_mul_f64 v[0:1], v[0:1], s[0:1]
	v_cvt_f32_f64_e32 v22, v[0:1]
	v_mul_f32_e32 v0, v19, v14
	v_fma_f32 v0, v18, v15, -v0
	v_cvt_f64_f32_e32 v[0:1], v0
	v_mul_f64 v[0:1], v[0:1], s[0:1]
	v_mad_u64_u32 v[14:15], s[2:3], s8, v170, 0
	v_cvt_f32_f64_e32 v23, v[0:1]
	v_mov_b32_e32 v0, v15
	ds_read2_b64 v[18:21], v9 offset0:188 offset1:244
	v_mad_u64_u32 v[0:1], s[2:3], s9, v170, v[0:1]
	v_mov_b32_e32 v15, v0
	v_lshl_add_u64 v[0:1], v[6:7], 3, v[4:5]
	v_lshl_add_u64 v[4:5], v[14:15], 3, v[0:1]
	v_accvgpr_read_b32 v14, a34
	v_accvgpr_read_b32 v15, a35
	s_waitcnt lgkmcnt(0)
	v_mul_f32_e32 v6, v15, v19
	v_fmac_f32_e32 v6, v14, v18
	v_cvt_f64_f32_e32 v[6:7], v6
	v_mul_f64 v[6:7], v[6:7], s[0:1]
	v_cvt_f32_f64_e32 v6, v[6:7]
	v_mul_f32_e32 v7, v15, v18
	v_fma_f32 v7, v14, v19, -v7
	v_cvt_f64_f32_e32 v[14:15], v7
	s_mul_i32 s2, s9, 0x2bc
	s_mul_hi_u32 s3, s8, 0x2bc
	v_mul_f64 v[14:15], v[14:15], s[0:1]
	s_add_i32 s3, s3, s2
	s_mul_i32 s2, s8, 0x2bc
	v_cvt_f32_f64_e32 v7, v[14:15]
	s_lshl_b64 s[10:11], s[2:3], 3
	v_accvgpr_read_b32 v14, a32
	global_store_dwordx2 v[4:5], v[22:23], off
	v_lshl_add_u64 v[4:5], v[4:5], 0, s[10:11]
	v_accvgpr_read_b32 v15, a33
	global_store_dwordx2 v[4:5], v[6:7], off
	v_mul_f32_e32 v6, v15, v17
	v_fmac_f32_e32 v6, v14, v16
	v_cvt_f64_f32_e32 v[6:7], v6
	v_mul_f64 v[6:7], v[6:7], s[0:1]
	v_cvt_f32_f64_e32 v6, v[6:7]
	v_mul_f32_e32 v7, v15, v16
	s_mul_hi_u32 s5, s8, 0xfffffd7c
	v_fma_f32 v7, v14, v17, -v7
	s_mul_i32 s4, s9, 0xfffffd7c
	s_sub_i32 s5, s5, s8
	v_cvt_f64_f32_e32 v[14:15], v7
	s_add_i32 s5, s5, s4
	s_mul_i32 s4, s8, 0xfffffd7c
	v_mul_f64 v[14:15], v[14:15], s[0:1]
	s_lshl_b64 s[12:13], s[4:5], 3
	v_cvt_f32_f64_e32 v7, v[14:15]
	v_lshl_add_u64 v[14:15], v[4:5], 0, s[12:13]
	global_store_dwordx2 v[14:15], v[6:7], off
	v_accvgpr_read_b32 v6, a26
	v_accvgpr_read_b32 v7, a27
	v_mul_f32_e32 v4, v7, v21
	v_fmac_f32_e32 v4, v6, v20
	v_cvt_f64_f32_e32 v[4:5], v4
	v_mul_f64 v[4:5], v[4:5], s[0:1]
	v_cvt_f32_f64_e32 v16, v[4:5]
	v_mul_f32_e32 v4, v7, v20
	v_fma_f32 v4, v6, v21, -v4
	v_cvt_f64_f32_e32 v[18:19], v4
	ds_read2_b64 v[4:7], v152 offset0:112 offset1:168
	v_mul_f64 v[18:19], v[18:19], s[0:1]
	v_cvt_f32_f64_e32 v17, v[18:19]
	v_lshl_add_u64 v[18:19], v[14:15], 0, s[10:11]
	global_store_dwordx2 v[18:19], v[16:17], off
	v_accvgpr_read_b32 v16, a22
	v_accvgpr_read_b32 v17, a23
	s_waitcnt lgkmcnt(0)
	v_mul_f32_e32 v8, v17, v5
	v_fmac_f32_e32 v8, v16, v4
	v_cvt_f64_f32_e32 v[14:15], v8
	v_mul_f32_e32 v4, v17, v4
	v_mul_f64 v[14:15], v[14:15], s[0:1]
	v_fma_f32 v4, v16, v5, -v4
	v_cvt_f32_f64_e32 v20, v[14:15]
	v_cvt_f64_f32_e32 v[4:5], v4
	ds_read2_b64 v[14:17], v11 offset0:44 offset1:100
	v_mul_f64 v[4:5], v[4:5], s[0:1]
	v_cvt_f32_f64_e32 v21, v[4:5]
	v_lshl_add_u64 v[4:5], v[18:19], 0, s[12:13]
	global_store_dwordx2 v[4:5], v[20:21], off
	v_accvgpr_read_b32 v20, a20
	v_accvgpr_read_b32 v21, a21
	s_waitcnt lgkmcnt(0)
	v_mul_f32_e32 v8, v21, v15
	v_fmac_f32_e32 v8, v20, v14
	v_cvt_f64_f32_e32 v[18:19], v8
	v_mul_f32_e32 v8, v21, v14
	v_fma_f32 v8, v20, v15, -v8
	v_cvt_f64_f32_e32 v[14:15], v8
	v_mul_f64 v[18:19], v[18:19], s[0:1]
	v_mul_f64 v[14:15], v[14:15], s[0:1]
	v_cvt_f32_f64_e32 v18, v[18:19]
	v_cvt_f32_f64_e32 v19, v[14:15]
	v_lshl_add_u64 v[4:5], v[4:5], 0, s[10:11]
	global_store_dwordx2 v[4:5], v[18:19], off
	v_accvgpr_read_b32 v18, a18
	v_accvgpr_read_b32 v19, a19
	v_mul_f32_e32 v8, v19, v7
	v_fmac_f32_e32 v8, v18, v6
	v_mul_f32_e32 v6, v19, v6
	v_fma_f32 v6, v18, v7, -v6
	v_cvt_f64_f32_e32 v[14:15], v8
	v_cvt_f64_f32_e32 v[6:7], v6
	v_mul_f64 v[14:15], v[14:15], s[0:1]
	v_mul_f64 v[6:7], v[6:7], s[0:1]
	v_cvt_f32_f64_e32 v14, v[14:15]
	v_cvt_f32_f64_e32 v15, v[6:7]
	v_accvgpr_read_b32 v6, a30
	v_accvgpr_read_b32 v7, a31
	v_lshl_add_u64 v[18:19], v[4:5], 0, s[12:13]
	v_mul_f32_e32 v4, v7, v17
	v_fmac_f32_e32 v4, v6, v16
	v_cvt_f64_f32_e32 v[4:5], v4
	v_mul_f64 v[4:5], v[4:5], s[0:1]
	global_store_dwordx2 v[18:19], v[14:15], off
	v_cvt_f32_f64_e32 v14, v[4:5]
	v_mul_f32_e32 v4, v7, v16
	v_fma_f32 v4, v6, v17, -v4
	v_cvt_f64_f32_e32 v[16:17], v4
	ds_read2_b64 v[4:7], v12 offset0:96 offset1:152
	v_mul_f64 v[12:13], v[16:17], s[0:1]
	v_cvt_f32_f64_e32 v15, v[12:13]
	v_lshl_add_u64 v[16:17], v[18:19], 0, s[10:11]
	global_store_dwordx2 v[16:17], v[14:15], off
	v_accvgpr_read_b32 v14, a14
	v_accvgpr_read_b32 v15, a15
	s_waitcnt lgkmcnt(0)
	v_mul_f32_e32 v8, v15, v5
	v_fmac_f32_e32 v8, v14, v4
	v_cvt_f64_f32_e32 v[12:13], v8
	v_mul_f64 v[12:13], v[12:13], s[0:1]
	v_mul_f32_e32 v4, v15, v4
	v_cvt_f32_f64_e32 v18, v[12:13]
	v_fma_f32 v4, v14, v5, -v4
	ds_read2_b64 v[12:15], v11 offset0:156 offset1:212
	v_cvt_f64_f32_e32 v[4:5], v4
	v_mul_f64 v[4:5], v[4:5], s[0:1]
	v_cvt_f32_f64_e32 v19, v[4:5]
	v_lshl_add_u64 v[4:5], v[16:17], 0, s[12:13]
	global_store_dwordx2 v[4:5], v[18:19], off
	v_accvgpr_read_b32 v19, a17
	v_accvgpr_read_b32 v18, a16
	s_waitcnt lgkmcnt(0)
	v_mul_f32_e32 v8, v19, v13
	v_fmac_f32_e32 v8, v18, v12
	v_cvt_f64_f32_e32 v[16:17], v8
	v_mul_f32_e32 v8, v19, v12
	v_fma_f32 v8, v18, v13, -v8
	v_cvt_f64_f32_e32 v[12:13], v8
	v_mul_f64 v[16:17], v[16:17], s[0:1]
	v_mul_f64 v[12:13], v[12:13], s[0:1]
	v_cvt_f32_f64_e32 v16, v[16:17]
	v_cvt_f32_f64_e32 v17, v[12:13]
	v_lshl_add_u64 v[4:5], v[4:5], 0, s[10:11]
	global_store_dwordx2 v[4:5], v[16:17], off
	v_accvgpr_read_b32 v17, a9
	v_accvgpr_read_b32 v16, a8
	v_mul_f32_e32 v8, v17, v7
	v_fmac_f32_e32 v8, v16, v6
	v_mul_f32_e32 v6, v17, v6
	v_fma_f32 v6, v16, v7, -v6
	v_cvt_f64_f32_e32 v[12:13], v8
	v_cvt_f64_f32_e32 v[6:7], v6
	v_mul_f64 v[12:13], v[12:13], s[0:1]
	v_mul_f64 v[6:7], v[6:7], s[0:1]
	v_cvt_f32_f64_e32 v12, v[12:13]
	v_cvt_f32_f64_e32 v13, v[6:7]
	v_accvgpr_read_b32 v6, a6
	v_accvgpr_read_b32 v7, a7
	v_lshl_add_u64 v[16:17], v[4:5], 0, s[12:13]
	v_mul_f32_e32 v4, v7, v15
	v_fmac_f32_e32 v4, v6, v14
	v_cvt_f64_f32_e32 v[4:5], v4
	v_mul_f64 v[4:5], v[4:5], s[0:1]
	global_store_dwordx2 v[16:17], v[12:13], off
	v_cvt_f32_f64_e32 v12, v[4:5]
	v_mul_f32_e32 v4, v7, v14
	v_fma_f32 v4, v6, v15, -v4
	v_cvt_f64_f32_e32 v[14:15], v4
	ds_read2_b64 v[4:7], v3 offset0:80 offset1:136
	v_mul_f64 v[14:15], v[14:15], s[0:1]
	v_cvt_f32_f64_e32 v13, v[14:15]
	v_lshl_add_u64 v[16:17], v[16:17], 0, s[10:11]
	global_store_dwordx2 v[16:17], v[12:13], off
	s_waitcnt lgkmcnt(0)
	v_mul_f32_e32 v8, v207, v5
	v_fmac_f32_e32 v8, v206, v4
	v_cvt_f64_f32_e32 v[12:13], v8
	v_mul_f64 v[12:13], v[12:13], s[0:1]
	v_cvt_f32_f64_e32 v18, v[12:13]
	ds_read2_b64 v[12:15], v10 offset0:12 offset1:68
	v_mul_f32_e32 v4, v207, v4
	v_fma_f32 v4, v206, v5, -v4
	v_cvt_f64_f32_e32 v[4:5], v4
	v_mul_f64 v[4:5], v[4:5], s[0:1]
	s_waitcnt lgkmcnt(0)
	v_mul_f32_e32 v8, v205, v13
	v_fmac_f32_e32 v8, v204, v12
	v_cvt_f32_f64_e32 v19, v[4:5]
	v_lshl_add_u64 v[4:5], v[16:17], 0, s[12:13]
	v_cvt_f64_f32_e32 v[16:17], v8
	v_mul_f32_e32 v8, v205, v12
	v_fma_f32 v8, v204, v13, -v8
	v_cvt_f64_f32_e32 v[12:13], v8
	v_mul_f32_e32 v8, v203, v7
	v_fmac_f32_e32 v8, v202, v6
	v_mul_f32_e32 v6, v203, v6
	v_mul_f64 v[16:17], v[16:17], s[0:1]
	v_mul_f64 v[12:13], v[12:13], s[0:1]
	v_fma_f32 v6, v202, v7, -v6
	v_cvt_f32_f64_e32 v16, v[16:17]
	v_cvt_f32_f64_e32 v17, v[12:13]
	v_cvt_f64_f32_e32 v[12:13], v8
	v_cvt_f64_f32_e32 v[6:7], v6
	v_mul_f64 v[12:13], v[12:13], s[0:1]
	v_mul_f64 v[6:7], v[6:7], s[0:1]
	v_cvt_f32_f64_e32 v12, v[12:13]
	v_cvt_f32_f64_e32 v13, v[6:7]
	v_accvgpr_read_b32 v6, a42
	global_store_dwordx2 v[4:5], v[18:19], off
	v_lshl_add_u64 v[4:5], v[4:5], 0, s[10:11]
	v_accvgpr_read_b32 v7, a43
	global_store_dwordx2 v[4:5], v[16:17], off
	v_lshl_add_u64 v[16:17], v[4:5], 0, s[12:13]
	v_mul_f32_e32 v4, v7, v15
	v_fmac_f32_e32 v4, v6, v14
	v_cvt_f64_f32_e32 v[4:5], v4
	v_mul_f64 v[4:5], v[4:5], s[0:1]
	global_store_dwordx2 v[16:17], v[12:13], off
	v_cvt_f32_f64_e32 v12, v[4:5]
	v_mul_f32_e32 v4, v7, v14
	v_fma_f32 v4, v6, v15, -v4
	v_cvt_f64_f32_e32 v[14:15], v4
	ds_read2_b64 v[4:7], v3 offset0:192 offset1:248
	v_accvgpr_read_b32 v18, a38
	v_accvgpr_read_b32 v19, a39
	v_mul_f64 v[14:15], v[14:15], s[0:1]
	v_cvt_f32_f64_e32 v13, v[14:15]
	s_waitcnt lgkmcnt(0)
	v_mul_f32_e32 v3, v19, v5
	v_lshl_add_u64 v[14:15], v[16:17], 0, s[10:11]
	v_fmac_f32_e32 v3, v18, v4
	global_store_dwordx2 v[14:15], v[12:13], off
	v_cvt_f64_f32_e32 v[12:13], v3
	v_mul_f32_e32 v3, v19, v4
	v_fma_f32 v3, v18, v5, -v3
	v_cvt_f64_f32_e32 v[4:5], v3
	v_mul_f64 v[4:5], v[4:5], s[0:1]
	v_mul_f64 v[12:13], v[12:13], s[0:1]
	v_cvt_f32_f64_e32 v17, v[4:5]
	v_mad_u64_u32 v[4:5], s[16:17], s8, v169, 0
	v_cvt_f32_f64_e32 v16, v[12:13]
	v_mov_b32_e32 v8, v5
	ds_read2_b64 v[10:13], v10 offset0:124 offset1:180
	v_mad_u64_u32 v[18:19], s[16:17], s9, v169, v[8:9]
	v_mov_b32_e32 v5, v18
	v_lshl_add_u64 v[0:1], v[4:5], 3, v[0:1]
	v_accvgpr_read_b32 v4, a36
	v_accvgpr_read_b32 v5, a37
	global_store_dwordx2 v[0:1], v[16:17], off
	s_waitcnt lgkmcnt(0)
	v_mul_f32_e32 v0, v5, v11
	v_fmac_f32_e32 v0, v4, v10
	v_cvt_f64_f32_e32 v[0:1], v0
	v_mul_f64 v[0:1], v[0:1], s[0:1]
	v_cvt_f32_f64_e32 v0, v[0:1]
	v_mul_f32_e32 v1, v5, v10
	v_fma_f32 v1, v4, v11, -v1
	v_cvt_f64_f32_e32 v[4:5], v1
	v_mul_f64 v[4:5], v[4:5], s[0:1]
	v_mov_b32_e32 v3, 0x1c0
	v_cvt_f32_f64_e32 v1, v[4:5]
	v_mad_u64_u32 v[4:5], s[16:17], s8, v3, v[14:15]
	s_mul_i32 s8, s9, 0x1c0
	v_accvgpr_read_b32 v10, a28
	v_add_u32_e32 v5, s8, v5
	v_accvgpr_read_b32 v11, a29
	global_store_dwordx2 v[4:5], v[0:1], off
	v_mul_f32_e32 v0, v11, v7
	v_fmac_f32_e32 v0, v10, v6
	v_cvt_f64_f32_e32 v[0:1], v0
	v_mul_f64 v[0:1], v[0:1], s[0:1]
	v_cvt_f32_f64_e32 v0, v[0:1]
	v_mul_f32_e32 v1, v11, v6
	v_fma_f32 v1, v10, v7, -v1
	v_cvt_f64_f32_e32 v[6:7], v1
	v_mul_f64 v[6:7], v[6:7], s[0:1]
	v_lshl_add_u64 v[10:11], v[4:5], 0, s[12:13]
	v_accvgpr_read_b32 v4, a24
	v_cvt_f32_f64_e32 v1, v[6:7]
	v_accvgpr_read_b32 v5, a25
	global_store_dwordx2 v[10:11], v[0:1], off
	v_mul_f32_e32 v0, v5, v13
	v_fmac_f32_e32 v0, v4, v12
	v_cvt_f64_f32_e32 v[0:1], v0
	v_mul_f64 v[0:1], v[0:1], s[0:1]
	v_cvt_f32_f64_e32 v0, v[0:1]
	v_mul_f32_e32 v1, v5, v12
	v_fma_f32 v1, v4, v13, -v1
	ds_read2_b64 v[4:7], v9 offset0:48 offset1:104
	v_cvt_f64_f32_e32 v[12:13], v1
	v_mul_f64 v[8:9], v[12:13], s[0:1]
	v_cvt_f32_f64_e32 v1, v[8:9]
	v_lshl_add_u64 v[8:9], v[10:11], 0, s[10:11]
	v_accvgpr_read_b32 v13, a5
	global_store_dwordx2 v[8:9], v[0:1], off
	v_accvgpr_read_b32 v12, a4
	s_waitcnt lgkmcnt(0)
	v_mul_f32_e32 v0, v13, v5
	v_fmac_f32_e32 v0, v12, v4
	v_cvt_f64_f32_e32 v[0:1], v0
	v_mul_f64 v[0:1], v[0:1], s[0:1]
	v_cvt_f32_f64_e32 v10, v[0:1]
	v_mul_f32_e32 v0, v13, v4
	v_fma_f32 v0, v12, v5, -v0
	v_cvt_f64_f32_e32 v[4:5], v0
	ds_read2_b64 v[0:3], v2 offset0:108 offset1:164
	v_mul_f64 v[4:5], v[4:5], s[0:1]
	v_cvt_f32_f64_e32 v11, v[4:5]
	v_lshl_add_u64 v[4:5], v[8:9], 0, s[12:13]
	global_store_dwordx2 v[4:5], v[10:11], off
	v_accvgpr_read_b32 v10, a12
	v_accvgpr_read_b32 v11, a13
	s_waitcnt lgkmcnt(0)
	v_mul_f32_e32 v8, v11, v1
	v_fmac_f32_e32 v8, v10, v0
	v_mul_f32_e32 v0, v11, v0
	v_fma_f32 v0, v10, v1, -v0
	v_cvt_f64_f32_e32 v[8:9], v8
	v_cvt_f64_f32_e32 v[0:1], v0
	v_mul_f64 v[8:9], v[8:9], s[0:1]
	v_mul_f64 v[0:1], v[0:1], s[0:1]
	v_cvt_f32_f64_e32 v8, v[8:9]
	v_cvt_f32_f64_e32 v9, v[0:1]
	v_lshl_add_u64 v[0:1], v[4:5], 0, s[10:11]
	global_store_dwordx2 v[0:1], v[8:9], off
	v_accvgpr_read_b32 v9, a3
	v_accvgpr_read_b32 v8, a2
	v_mul_f32_e32 v4, v9, v7
	v_fmac_f32_e32 v4, v8, v6
	v_cvt_f64_f32_e32 v[4:5], v4
	v_mul_f64 v[4:5], v[4:5], s[0:1]
	v_cvt_f32_f64_e32 v4, v[4:5]
	v_mul_f32_e32 v5, v9, v6
	v_fma_f32 v5, v8, v7, -v5
	v_cvt_f64_f32_e32 v[6:7], v5
	v_mul_f64 v[6:7], v[6:7], s[0:1]
	v_cvt_f32_f64_e32 v5, v[6:7]
	v_accvgpr_read_b32 v6, a10
	v_lshl_add_u64 v[0:1], v[0:1], 0, s[12:13]
	v_accvgpr_read_b32 v7, a11
	global_store_dwordx2 v[0:1], v[4:5], off
	v_mul_f32_e32 v4, v7, v3
	v_fmac_f32_e32 v4, v6, v2
	v_mul_f32_e32 v2, v7, v2
	v_fma_f32 v2, v6, v3, -v2
	v_cvt_f64_f32_e32 v[4:5], v4
	v_cvt_f64_f32_e32 v[2:3], v2
	v_mul_f64 v[4:5], v[4:5], s[0:1]
	v_mul_f64 v[2:3], v[2:3], s[0:1]
	v_cvt_f32_f64_e32 v4, v[4:5]
	v_cvt_f32_f64_e32 v5, v[2:3]
	v_lshl_add_u64 v[0:1], v[0:1], 0, s[10:11]
	global_store_dwordx2 v[0:1], v[4:5], off
	s_and_b64 exec, exec, s[6:7]
	s_cbranch_execz .LBB0_41
; %bb.40:
	v_accvgpr_read_b32 v9, a1
	v_accvgpr_read_b32 v8, a0
	v_add_co_u32_e32 v2, vcc, 0x1000, v8
	v_lshl_add_u64 v[0:1], s[4:5], 3, v[0:1]
	s_nop 0
	v_addc_co_u32_e32 v3, vcc, 0, v9, vcc
	global_load_dwordx2 v[2:3], v[2:3], off offset:1280
	ds_read_b64 v[4:5], v152 offset:5376
	ds_read_b64 v[6:7], v152 offset:10976
	v_add_co_u32_e32 v8, vcc, s14, v8
	s_waitcnt vmcnt(0) lgkmcnt(1)
	v_mul_f32_e32 v10, v5, v3
	v_mul_f32_e32 v3, v4, v3
	v_fmac_f32_e32 v10, v4, v2
	v_fma_f32 v4, v2, v5, -v3
	v_cvt_f64_f32_e32 v[2:3], v10
	v_cvt_f64_f32_e32 v[4:5], v4
	v_mul_f64 v[2:3], v[2:3], s[0:1]
	v_mul_f64 v[4:5], v[4:5], s[0:1]
	v_cvt_f32_f64_e32 v2, v[2:3]
	v_cvt_f32_f64_e32 v3, v[4:5]
	v_addc_co_u32_e32 v9, vcc, 0, v9, vcc
	global_store_dwordx2 v[0:1], v[2:3], off
	global_load_dwordx2 v[2:3], v[8:9], off offset:2784
	v_lshl_add_u64 v[0:1], s[2:3], 3, v[0:1]
	s_waitcnt vmcnt(0) lgkmcnt(0)
	v_mul_f32_e32 v4, v7, v3
	v_mul_f32_e32 v3, v6, v3
	v_fmac_f32_e32 v4, v6, v2
	v_fma_f32 v5, v2, v7, -v3
	v_cvt_f64_f32_e32 v[2:3], v4
	v_cvt_f64_f32_e32 v[4:5], v5
	v_mul_f64 v[2:3], v[2:3], s[0:1]
	v_mul_f64 v[4:5], v[4:5], s[0:1]
	v_cvt_f32_f64_e32 v2, v[2:3]
	v_cvt_f32_f64_e32 v3, v[4:5]
	global_store_dwordx2 v[0:1], v[2:3], off
.LBB0_41:
	s_endpgm
	.section	.rodata,"a",@progbits
	.p2align	6, 0x0
	.amdhsa_kernel bluestein_single_back_len1400_dim1_sp_op_CI_CI
		.amdhsa_group_segment_fixed_size 11200
		.amdhsa_private_segment_fixed_size 0
		.amdhsa_kernarg_size 104
		.amdhsa_user_sgpr_count 2
		.amdhsa_user_sgpr_dispatch_ptr 0
		.amdhsa_user_sgpr_queue_ptr 0
		.amdhsa_user_sgpr_kernarg_segment_ptr 1
		.amdhsa_user_sgpr_dispatch_id 0
		.amdhsa_user_sgpr_kernarg_preload_length 0
		.amdhsa_user_sgpr_kernarg_preload_offset 0
		.amdhsa_user_sgpr_private_segment_size 0
		.amdhsa_uses_dynamic_stack 0
		.amdhsa_enable_private_segment 0
		.amdhsa_system_sgpr_workgroup_id_x 1
		.amdhsa_system_sgpr_workgroup_id_y 0
		.amdhsa_system_sgpr_workgroup_id_z 0
		.amdhsa_system_sgpr_workgroup_info 0
		.amdhsa_system_vgpr_workitem_id 0
		.amdhsa_next_free_vgpr 300
		.amdhsa_next_free_sgpr 32
		.amdhsa_accum_offset 256
		.amdhsa_reserve_vcc 1
		.amdhsa_float_round_mode_32 0
		.amdhsa_float_round_mode_16_64 0
		.amdhsa_float_denorm_mode_32 3
		.amdhsa_float_denorm_mode_16_64 3
		.amdhsa_dx10_clamp 1
		.amdhsa_ieee_mode 1
		.amdhsa_fp16_overflow 0
		.amdhsa_tg_split 0
		.amdhsa_exception_fp_ieee_invalid_op 0
		.amdhsa_exception_fp_denorm_src 0
		.amdhsa_exception_fp_ieee_div_zero 0
		.amdhsa_exception_fp_ieee_overflow 0
		.amdhsa_exception_fp_ieee_underflow 0
		.amdhsa_exception_fp_ieee_inexact 0
		.amdhsa_exception_int_div_zero 0
	.end_amdhsa_kernel
	.text
.Lfunc_end0:
	.size	bluestein_single_back_len1400_dim1_sp_op_CI_CI, .Lfunc_end0-bluestein_single_back_len1400_dim1_sp_op_CI_CI
                                        ; -- End function
	.section	.AMDGPU.csdata,"",@progbits
; Kernel info:
; codeLenInByte = 28472
; NumSgprs: 38
; NumVgprs: 256
; NumAgprs: 44
; TotalNumVgprs: 300
; ScratchSize: 0
; MemoryBound: 0
; FloatMode: 240
; IeeeMode: 1
; LDSByteSize: 11200 bytes/workgroup (compile time only)
; SGPRBlocks: 4
; VGPRBlocks: 37
; NumSGPRsForWavesPerEU: 38
; NumVGPRsForWavesPerEU: 300
; AccumOffset: 256
; Occupancy: 1
; WaveLimiterHint : 1
; COMPUTE_PGM_RSRC2:SCRATCH_EN: 0
; COMPUTE_PGM_RSRC2:USER_SGPR: 2
; COMPUTE_PGM_RSRC2:TRAP_HANDLER: 0
; COMPUTE_PGM_RSRC2:TGID_X_EN: 1
; COMPUTE_PGM_RSRC2:TGID_Y_EN: 0
; COMPUTE_PGM_RSRC2:TGID_Z_EN: 0
; COMPUTE_PGM_RSRC2:TIDIG_COMP_CNT: 0
; COMPUTE_PGM_RSRC3_GFX90A:ACCUM_OFFSET: 63
; COMPUTE_PGM_RSRC3_GFX90A:TG_SPLIT: 0
	.text
	.p2alignl 6, 3212836864
	.fill 256, 4, 3212836864
	.type	__hip_cuid_42b72ee3e7b53d32,@object ; @__hip_cuid_42b72ee3e7b53d32
	.section	.bss,"aw",@nobits
	.globl	__hip_cuid_42b72ee3e7b53d32
__hip_cuid_42b72ee3e7b53d32:
	.byte	0                               ; 0x0
	.size	__hip_cuid_42b72ee3e7b53d32, 1

	.ident	"AMD clang version 19.0.0git (https://github.com/RadeonOpenCompute/llvm-project roc-6.4.0 25133 c7fe45cf4b819c5991fe208aaa96edf142730f1d)"
	.section	".note.GNU-stack","",@progbits
	.addrsig
	.addrsig_sym __hip_cuid_42b72ee3e7b53d32
	.amdgpu_metadata
---
amdhsa.kernels:
  - .agpr_count:     44
    .args:
      - .actual_access:  read_only
        .address_space:  global
        .offset:         0
        .size:           8
        .value_kind:     global_buffer
      - .actual_access:  read_only
        .address_space:  global
        .offset:         8
        .size:           8
        .value_kind:     global_buffer
      - .actual_access:  read_only
        .address_space:  global
        .offset:         16
        .size:           8
        .value_kind:     global_buffer
      - .actual_access:  read_only
        .address_space:  global
        .offset:         24
        .size:           8
        .value_kind:     global_buffer
      - .actual_access:  read_only
        .address_space:  global
        .offset:         32
        .size:           8
        .value_kind:     global_buffer
      - .offset:         40
        .size:           8
        .value_kind:     by_value
      - .address_space:  global
        .offset:         48
        .size:           8
        .value_kind:     global_buffer
      - .address_space:  global
        .offset:         56
        .size:           8
        .value_kind:     global_buffer
      - .address_space:  global
        .offset:         64
        .size:           8
        .value_kind:     global_buffer
      - .address_space:  global
        .offset:         72
        .size:           8
        .value_kind:     global_buffer
      - .offset:         80
        .size:           4
        .value_kind:     by_value
      - .address_space:  global
        .offset:         88
        .size:           8
        .value_kind:     global_buffer
      - .address_space:  global
        .offset:         96
        .size:           8
        .value_kind:     global_buffer
    .group_segment_fixed_size: 11200
    .kernarg_segment_align: 8
    .kernarg_segment_size: 104
    .language:       OpenCL C
    .language_version:
      - 2
      - 0
    .max_flat_workgroup_size: 56
    .name:           bluestein_single_back_len1400_dim1_sp_op_CI_CI
    .private_segment_fixed_size: 0
    .sgpr_count:     38
    .sgpr_spill_count: 0
    .symbol:         bluestein_single_back_len1400_dim1_sp_op_CI_CI.kd
    .uniform_work_group_size: 1
    .uses_dynamic_stack: false
    .vgpr_count:     300
    .vgpr_spill_count: 0
    .wavefront_size: 64
amdhsa.target:   amdgcn-amd-amdhsa--gfx950
amdhsa.version:
  - 1
  - 2
...

	.end_amdgpu_metadata
